;; amdgpu-corpus repo=ROCm/rccl kind=compiled arch=gfx942 opt=O3
	.text
	.amdgcn_target "amdgcn-amd-amdhsa--gfx942"
	.amdhsa_code_object_version 6
	.p2align	2                               ; -- Begin function _ZN12_GLOBAL__N_17runRingI6__half10FuncMinMaxIS1_E7ProtoLLLi0ELi1ELi0EEEviiP15ncclDevWorkColl
	.type	_ZN12_GLOBAL__N_17runRingI6__half10FuncMinMaxIS1_E7ProtoLLLi0ELi1ELi0EEEviiP15ncclDevWorkColl,@function
_ZN12_GLOBAL__N_17runRingI6__half10FuncMinMaxIS1_E7ProtoLLLi0ELi1ELi0EEEviiP15ncclDevWorkColl: ; @_ZN12_GLOBAL__N_17runRingI6__half10FuncMinMaxIS1_E7ProtoLLLi0ELi1ELi0EEEviiP15ncclDevWorkColl
; %bb.0:
	s_waitcnt vmcnt(0) expcnt(0) lgkmcnt(0)
	s_or_saveexec_b64 s[0:1], -1
	scratch_store_dword off, v63, s32 offset:104 ; 4-byte Folded Spill
	s_mov_b64 exec, s[0:1]
	scratch_store_dword off, v40, s32 offset:100 ; 4-byte Folded Spill
	scratch_store_dword off, v41, s32 offset:96 ; 4-byte Folded Spill
	;; [unrolled: 1-line block ×25, first 2 shown]
	scratch_store_dword off, a43, s32       ; 4-byte Folded Spill
	v_writelane_b32 v63, s34, 0
	v_writelane_b32 v63, s35, 1
	;; [unrolled: 1-line block ×27, first 2 shown]
	s_nop 1
	v_writelane_b32 v63, s31, 27
	s_trap 2
	flat_load_dword v10, v[2:3]
	flat_load_dwordx4 v[20:23], v[2:3] offset:72
	flat_load_dwordx2 v[4:5], v[2:3] offset:88
	ds_read_b32 v8, v0
	ds_read_b64 v[18:19], v0
	v_mov_b32_e32 v24, v0
	v_mov_b32_e32 v16, v1
                                        ; implicit-def: $agpr4_agpr5
	s_waitcnt lgkmcnt(0)
	v_readfirstlane_b32 s24, v8
	s_waitcnt vmcnt(0)
	v_not_b32_sdwa v9, v10 dst_sel:DWORD dst_unused:UNUSED_PAD src0_sel:BYTE_0
	v_add_u32_sdwa v0, v10, v9 dst_sel:DWORD dst_unused:UNUSED_PAD src0_sel:BYTE_1 src1_sel:DWORD
	v_ashrrev_i32_e32 v1, 31, v0
	v_mul_lo_u32 v11, v23, v0
	v_mad_u64_u32 v[6:7], s[0:1], v22, v0, 0
	v_mul_lo_u32 v0, v22, v1
	v_add3_u32 v7, v7, v0, v11
	v_cmp_ne_u32_sdwa s[0:1], v10, v8 src0_sel:BYTE_0 src1_sel:DWORD
                                        ; implicit-def: $vgpr0_vgpr1
	s_and_saveexec_b64 s[2:3], s[0:1]
	s_xor_b64 s[0:1], exec, s[2:3]
	s_cbranch_execz .LBB0_6
; %bb.1:
	v_cmp_ne_u32_sdwa s[2:3], v10, v8 src0_sel:BYTE_1 src1_sel:DWORD
                                        ; implicit-def: $vgpr0_vgpr1
                                        ; implicit-def: $agpr4_agpr5
	s_and_saveexec_b64 s[4:5], s[2:3]
	s_xor_b64 s[2:3], exec, s[4:5]
	s_cbranch_execz .LBB0_3
; %bb.2:
	flat_load_dwordx2 v[0:1], v[2:3] offset:96
	v_add_u32_e32 v8, v8, v9
	v_ashrrev_i32_e32 v9, 31, v8
	v_mul_lo_u32 v9, v22, v9
	v_mul_lo_u32 v10, v23, v8
	v_mad_u64_u32 v[12:13], s[4:5], v22, v8, v[20:21]
	v_add3_u32 v13, v10, v13, v9
	v_accvgpr_write_b32 a4, v12
	v_accvgpr_write_b32 a5, v13
	s_waitcnt vmcnt(0) lgkmcnt(0)
	v_lshrrev_b64 v[0:1], 18, v[0:1]
.LBB0_3:
	s_andn2_saveexec_b64 s[2:3], s[2:3]
	s_cbranch_execz .LBB0_5
; %bb.4:
	flat_load_dword v0, v[2:3] offset:100
	v_lshl_add_u64 v[8:9], v[6:7], 0, v[20:21]
	v_accvgpr_write_b32 a4, v8
	v_accvgpr_write_b32 a5, v9
	v_mov_b64_e32 v[22:23], v[4:5]
	s_waitcnt vmcnt(0) lgkmcnt(0)
	v_lshrrev_b32_e32 v0, 7, v0
.LBB0_5:
	s_or_b64 exec, exec, s[2:3]
.LBB0_6:
	s_andn2_saveexec_b64 s[0:1], s[0:1]
	s_cbranch_execz .LBB0_8
; %bb.7:
	flat_load_dwordx2 v[0:1], v[2:3] offset:96
	v_mov_b64_e32 v[8:9], 0
	v_accvgpr_write_b32 a4, v8
	v_accvgpr_write_b32 a5, v9
	v_mov_b64_e32 v[22:23], v[20:21]
	s_waitcnt vmcnt(0) lgkmcnt(0)
	v_lshlrev_b64 v[0:1], 3, v[0:1]
.LBB0_8:
	s_or_b64 exec, exec, s[0:1]
	s_load_dword s0, s[8:9], 0x0
	flat_load_dwordx2 v[8:9], v[2:3] offset:104
	flat_load_ushort v11, v[2:3] offset:8
	flat_load_dword v10, v[2:3] offset:4
	flat_load_dwordx4 a[6:9], v[2:3] offset:16
	v_mov_b32_e32 v3, 0
	v_and_b32_e32 v1, 63, v24
	s_waitcnt lgkmcnt(0)
	s_cmp_lt_u32 s12, s0
	s_cselect_b32 s0, 12, 18
	s_add_u32 s0, s8, s0
	s_addc_u32 s1, s9, 0
	global_load_ushort v17, v3, s[0:1]
	s_trap 2
	ds_read_b32 v2, v0
	s_mov_b32 s2, 0
	v_mov_b64_e32 v[26:27], 0
	v_cmp_eq_u32_e64 s[0:1], 0, v1
	s_waitcnt lgkmcnt(0)
	v_cmp_gt_i32_e32 vcc, 0, v2
	v_readfirstlane_b32 s4, v2
	s_waitcnt vmcnt(0)
	v_lshrrev_b64 v[10:11], 31, v[10:11]
	v_and_b32_e32 v9, 3, v10
	s_cbranch_vccnz .LBB0_10
; %bb.9:
	s_trap 2
	ds_read_b64 v[10:11], v0
	v_lshlrev_b64 v[2:3], 3, v[2:3]
	s_movk_i32 s2, 0xa8
	s_waitcnt lgkmcnt(0)
	v_lshl_add_u64 v[2:3], v[10:11], 0, v[2:3]
	flat_load_dwordx2 v[2:3], v[2:3]
	v_and_b32_e32 v10, 0xffff, v9
	s_waitcnt vmcnt(0) lgkmcnt(0)
	v_mad_u64_u32 v[2:3], s[2:3], v10, s2, v[2:3]
	flat_load_dwordx2 a[14:15], v[2:3] offset:504
	flat_load_dwordx2 v[28:29], v[2:3] offset:608
	s_mov_b64 s[2:3], 0x1f8
	v_lshl_add_u64 v[2:3], v[2:3], 0, s[2:3]
	v_cndmask_b32_e64 v39, 0, v3, s[0:1]
	v_cndmask_b32_e64 v38, 0, v2, s[0:1]
	s_mov_b32 s2, 1
	s_branch .LBB0_11
.LBB0_10:
	v_mov_b64_e32 v[38:39], v[26:27]
                                        ; implicit-def: $vgpr28_vgpr29
                                        ; implicit-def: $agpr14_agpr15
.LBB0_11:
	s_trap 2
	ds_read_b32 v2, v0
	s_waitcnt lgkmcnt(0)
	v_cmp_gt_i32_e32 vcc, 0, v2
	s_cbranch_vccnz .LBB0_13
; %bb.12:
	s_trap 2
	ds_read_b64 v[10:11], v0
	v_mov_b32_e32 v3, 0
	v_lshlrev_b64 v[2:3], 3, v[2:3]
	v_and_b32_e32 v9, 0xffff, v9
	s_movk_i32 s0, 0xa8
	s_waitcnt lgkmcnt(0)
	v_lshl_add_u64 v[2:3], v[10:11], 0, v[2:3]
	flat_load_dwordx2 v[2:3], v[2:3]
	v_cmp_eq_u32_e32 vcc, 0, v1
	s_waitcnt vmcnt(0) lgkmcnt(0)
	v_mad_u64_u32 v[2:3], s[0:1], v9, s0, v[2:3]
	flat_load_dwordx2 v[32:33], v[2:3]
	flat_load_dwordx2 v[42:43], v[2:3] offset:104
	v_cndmask_b32_e32 v27, 0, v3, vcc
	v_cndmask_b32_e32 v26, 0, v2, vcc
	s_branch .LBB0_14
.LBB0_13:
                                        ; implicit-def: $vgpr42_vgpr43
                                        ; implicit-def: $vgpr32_vgpr33
.LBB0_14:
	v_subrev_u32_e32 v2, 64, v16
	v_mov_b64_e32 v[36:37], 0
	v_cmp_le_i32_e32 vcc, v2, v24
	v_cmp_gt_u32_e64 s[0:1], s2, v1
	v_accvgpr_write_b32 a16, v36
	s_and_b64 s[26:27], vcc, s[0:1]
	v_accvgpr_write_b32 a17, v37
                                        ; implicit-def: $vgpr34_vgpr35
	s_and_saveexec_b64 s[0:1], s[26:27]
	s_cbranch_execz .LBB0_16
; %bb.15:
	flat_load_dwordx2 a[16:17], v[38:39] offset:56
	flat_load_dwordx2 v[34:35], v[38:39] offset:104
.LBB0_16:
	s_or_b64 exec, exec, s[0:1]
	v_cmp_gt_i32_e64 s[0:1], s2, v24
	v_mov_b64_e32 v[12:13], v[36:37]
                                        ; implicit-def: $vgpr48_vgpr49
	s_and_saveexec_b64 s[2:3], s[0:1]
	s_cbranch_execz .LBB0_18
; %bb.17:
	flat_load_dwordx2 v[36:37], v[26:27] offset:56
	s_waitcnt vmcnt(0) lgkmcnt(0)
	flat_load_dwordx2 v[48:49], v[36:37] sc0 sc1
	s_waitcnt vmcnt(0)
	flat_load_dwordx4 v[12:15], v[26:27] offset:96
.LBB0_18:
	s_or_b64 exec, exec, s[2:3]
	v_cmp_ne_u64_e32 vcc, 0, v[22:23]
	v_mov_b64_e32 v[52:53], 0
	s_and_saveexec_b64 s[28:29], vcc
	s_cbranch_execz .LBB0_298
; %bb.19:
	s_ashr_i32 s2, s4, 31
	s_lshr_b32 s2, s2, 29
	s_ashr_i32 s25, s24, 31
	s_add_i32 s4, s4, s2
	v_lshl_add_u64 v[2:3], v[4:5], 0, v[20:21]
	s_lshl_b64 s[2:3], s[24:25], 2
	v_lshl_add_u64 v[40:41], v[2:3], 0, v[6:7]
	v_lshl_add_u64 v[2:3], v[18:19], 0, s[2:3]
	v_accvgpr_write_b32 a1, v17
	v_cmp_ne_u32_sdwa s[36:37], v17, v16 src0_sel:WORD_0 src1_sel:DWORD
	v_and_b32_e32 v1, 63, v31
	v_ashrrev_i32_e32 v17, 31, v16
	v_lshl_add_u64 v[2:3], v[2:3], 0, -4
	v_cmp_eq_u32_e64 s[8:9], 0, v1
	v_lshrrev_b32_e32 v1, 26, v17
	v_accvgpr_write_b32 a19, v3
	v_add_u32_e32 v1, v16, v1
	v_accvgpr_write_b32 a18, v2
	v_ashrrev_i32_e32 v2, 6, v1
	v_ashrrev_i32_e32 v3, 31, v2
	v_accvgpr_write_b32 a21, v3
	v_accvgpr_write_b32 a20, v2
	v_lshlrev_b32_e32 v2, 2, v24
	v_ashrrev_i32_e32 v3, 31, v2
	v_accvgpr_write_b32 a23, v3
	v_accvgpr_read_b32 v4, a6
	v_accvgpr_write_b32 a22, v2
	v_lshlrev_b64 v[2:3], 1, v[2:3]
	v_accvgpr_read_b32 v5, a7
	v_accvgpr_read_b32 v6, a8
	;; [unrolled: 1-line block ×3, first 2 shown]
	v_lshl_add_u64 v[10:11], v[6:7], 0, v[2:3]
	v_lshl_add_u64 v[2:3], v[4:5], 0, v[2:3]
	v_accvgpr_write_b32 a27, v3
	v_accvgpr_write_b32 a26, v2
	v_accvgpr_read_b32 v2, a4
	v_accvgpr_write_b32 a10, v26
	v_and_b32_e32 v1, 1, v8
	v_accvgpr_read_b32 v3, a5
	v_accvgpr_write_b32 a11, v27
	v_and_b32_e32 v26, 0xfffff8, v0
	v_cmp_eq_u32_e64 s[10:11], 1, v1
	v_and_b32_e32 v54, 1, v4
	v_lshl_add_u64 v[4:5], v[2:3], 1, v[10:11]
	v_lshlrev_b32_e32 v1, 1, v0
	v_lshlrev_b32_e32 v0, 4, v0
	v_mov_b32_e32 v55, 0
	v_accvgpr_write_b32 a29, v5
	v_and_b32_e32 v0, 0xfffff80, v0
	v_accvgpr_write_b32 a28, v4
	v_and_b32_e32 v4, 0x1fffff0, v1
	v_mov_b32_e32 v5, v55
	v_lshlrev_b32_e32 v1, 1, v2
	v_accvgpr_write_b32 a35, v0
	v_lshlrev_b32_e32 v0, 4, v40
	s_ashr_i32 s6, s4, 3
	v_accvgpr_write_b32 a31, v5
	v_lshl_add_u32 v1, v24, 3, v1
	v_accvgpr_write_b32 a36, v0
	v_lshlrev_b32_e32 v0, 6, v16
	v_ashrrev_i32_e32 v25, 31, v24
	s_ashr_i32 s54, s4, 7
	s_and_b32 s25, s6, -16
	v_lshlrev_b32_e32 v56, 2, v16
	s_waitcnt vmcnt(0) lgkmcnt(0)
	v_accvgpr_read_b32 v8, a16
	v_accvgpr_write_b32 a25, v11
	v_accvgpr_write_b32 a30, v4
	v_lshlrev_b64 v[4:5], 1, v[40:41]
	v_add_lshl_u32 v2, v1, v6, 3
	v_accvgpr_write_b32 a37, v0
	v_lshl_add_u64 v[0:1], v[24:25], 4, v[32:33]
	v_accvgpr_write_b32 a12, v38
	s_mov_b32 s30, 0
	v_ashrrev_i32_e32 v57, 31, v56
	s_cmp_gt_i32 s24, 2
	v_accvgpr_read_b32 v9, a17
	v_accvgpr_write_b32 a24, v10
	v_accvgpr_write_b32 a33, v5
	v_accvgpr_write_b32 a39, v1
	v_mov_b64_e32 v[10:11], 0
	v_accvgpr_write_b32 a13, v39
	s_mov_b32 s31, 1
	v_mov_b32_e32 v27, v55
	s_mov_b64 s[34:35], 0
	v_cmp_ne_u64_e64 s[2:3], 0, v[36:37]
	v_cmp_ne_u64_e64 s[4:5], 0, v[12:13]
	v_cmp_ne_u32_e64 s[6:7], 64, v16
	v_accvgpr_write_b32 a0, v31
	s_cselect_b64 s[38:39], -1, 0
	v_cmp_ne_u64_e64 s[12:13], 0, v[8:9]
	v_cmp_eq_u64_e64 s[14:15], 0, v[54:55]
	v_accvgpr_write_b32 a32, v4
	v_accvgpr_write_b32 a34, v2
	s_movk_i32 s55, 0x2710
	s_mov_b64 s[40:41], 0x7ffffff8
	s_movk_i32 s56, 0x7c00
	s_movk_i32 s57, 0x7c01
	v_mov_b32_e32 v62, 0x7fff
	v_mov_b64_e32 v[2:3], v[22:23]
	v_mov_b32_e32 v22, 0
	v_lshlrev_b64 v[60:61], 1, v[56:57]
	v_accvgpr_write_b32 a38, v0
	v_lshlrev_b64 v[58:59], 4, v[16:17]
	v_mov_b64_e32 v[52:53], v[10:11]
	s_branch .LBB0_21
.LBB0_20:                               ;   in Loop: Header=BB0_21 Depth=1
	s_or_b64 exec, exec, s[16:17]
	v_accvgpr_read_b32 v0, a28
	v_accvgpr_read_b32 v2, a30
	;; [unrolled: 1-line block ×4, first 2 shown]
	v_lshl_add_u64 v[0:1], v[0:1], 0, v[2:3]
	v_accvgpr_write_b32 a29, v1
	v_accvgpr_read_b32 v2, a2
	v_lshl_add_u64 v[10:11], v[10:11], 0, v[6:7]
	v_accvgpr_write_b32 a28, v0
	v_accvgpr_read_b32 v3, a3
	v_accvgpr_read_b32 v0, a34
	;; [unrolled: 1-line block ×3, first 2 shown]
	v_cmp_ge_u64_e32 vcc, v[10:11], v[2:3]
	v_add_u32_e32 v0, v0, v1
	v_lshl_add_u64 v[28:29], v[28:29], 0, 1
	s_or_b64 s[34:35], vcc, s[34:35]
	v_accvgpr_write_b32 a34, v0
	v_mov_b64_e32 v[26:27], v[6:7]
	s_andn2_b64 exec, exec, s[34:35]
	s_cbranch_execz .LBB0_297
.LBB0_21:                               ; =>This Loop Header: Depth=1
                                        ;     Child Loop BB0_28 Depth 2
                                        ;     Child Loop BB0_45 Depth 2
                                        ;     Child Loop BB0_59 Depth 2
                                        ;     Child Loop BB0_66 Depth 2
                                        ;     Child Loop BB0_70 Depth 2
                                        ;       Child Loop BB0_85 Depth 3
                                        ;       Child Loop BB0_101 Depth 3
	;; [unrolled: 1-line block ×3, first 2 shown]
                                        ;         Child Loop BB0_124 Depth 4
                                        ;       Child Loop BB0_186 Depth 3
                                        ;       Child Loop BB0_78 Depth 3
                                        ;     Child Loop BB0_201 Depth 2
                                        ;       Child Loop BB0_209 Depth 3
                                        ;     Child Loop BB0_285 Depth 2
	v_accvgpr_read_b32 v0, a18
	v_accvgpr_read_b32 v1, a19
	flat_load_dword v6, v[0:1]
	v_sub_co_u32_e32 v0, vcc, v2, v10
	v_accvgpr_write_b32 a2, v2
	s_nop 0
	v_subb_co_u32_e32 v1, vcc, v3, v11, vcc
	v_cmp_lt_u64_e32 vcc, v[26:27], v[0:1]
	v_accvgpr_write_b32 a3, v3
	v_accvgpr_write_b32 a6, v26
	v_cndmask_b32_e32 v2, v0, v26, vcc
	v_lshl_add_u32 v0, v2, 2, 12
	v_and_b32_e32 v0, 0x7fffff0, v0
	v_accvgpr_write_b32 a7, v27
	v_accvgpr_write_b32 a40, v0
	s_and_saveexec_b64 s[16:17], s[2:3]
	s_cbranch_execz .LBB0_37
; %bb.22:                               ;   in Loop: Header=BB0_21 Depth=1
	v_lshl_add_u64 v[0:1], v[14:15], 0, 1
	v_lshl_add_u64 v[4:5], v[48:49], 0, 8
	v_cmp_lt_u64_e32 vcc, v[4:5], v[0:1]
	s_and_saveexec_b64 s[18:19], vcc
	s_cbranch_execz .LBB0_34
; %bb.23:                               ;   in Loop: Header=BB0_21 Depth=1
	s_sleep 1
	flat_load_dwordx2 v[48:49], v[36:37] sc1
	v_cmp_eq_u32_e32 vcc, 0, v22
	s_and_saveexec_b64 s[20:21], vcc
	s_cbranch_execz .LBB0_33
; %bb.24:                               ;   in Loop: Header=BB0_21 Depth=1
	v_cndmask_b32_e64 v3, 0, 1, vcc
	s_mov_b64 s[22:23], 0
                                        ; implicit-def: $sgpr42_sgpr43
	s_branch .LBB0_28
.LBB0_25:                               ;   in Loop: Header=BB0_28 Depth=2
	s_or_b64 exec, exec, s[50:51]
	s_orn2_b64 s[48:49], s[48:49], exec
.LBB0_26:                               ;   in Loop: Header=BB0_28 Depth=2
	s_or_b64 exec, exec, s[46:47]
	s_xor_b64 vcc, s[48:49], -1
	s_andn2_b64 s[42:43], s[42:43], exec
	s_and_b64 vcc, vcc, exec
	s_or_b64 s[42:43], s[42:43], vcc
.LBB0_27:                               ;   in Loop: Header=BB0_28 Depth=2
	s_or_b64 exec, exec, s[44:45]
	s_and_b64 vcc, exec, s[42:43]
	s_or_b64 s[22:23], vcc, s[22:23]
	s_andn2_b64 exec, exec, s[22:23]
	s_cbranch_execz .LBB0_32
.LBB0_28:                               ;   Parent Loop BB0_21 Depth=1
                                        ; =>  This Inner Loop Header: Depth=2
	s_waitcnt vmcnt(0) lgkmcnt(0)
	v_lshl_add_u64 v[4:5], v[48:49], 0, 8
	v_cmp_lt_u64_e32 vcc, v[4:5], v[0:1]
	v_mov_b32_e32 v22, 0
	s_or_b64 s[42:43], s[42:43], exec
	s_and_saveexec_b64 s[44:45], vcc
	s_cbranch_execz .LBB0_27
; %bb.29:                               ;   in Loop: Header=BB0_28 Depth=2
	s_sleep 1
	flat_load_dwordx2 v[48:49], v[36:37] sc1
	v_add_u32_e32 v3, 1, v3
	v_cmp_eq_u32_e32 vcc, s55, v3
	s_mov_b64 s[48:49], -1
	v_mov_b32_e32 v22, 0
	s_and_saveexec_b64 s[46:47], vcc
	s_cbranch_execz .LBB0_26
; %bb.30:                               ;   in Loop: Header=BB0_28 Depth=2
	s_trap 2
	ds_read_b64 v[4:5], v0
	v_mov_b32_e32 v3, 0
	v_mov_b32_e32 v22, 0
	s_waitcnt vmcnt(0) lgkmcnt(0)
	flat_load_dword v4, v[4:5] sc0 sc1
	s_waitcnt vmcnt(0) lgkmcnt(0)
	buffer_inv sc0 sc1
	v_cmp_ne_u32_e32 vcc, 0, v4
	s_and_saveexec_b64 s[50:51], vcc
	s_cbranch_execz .LBB0_25
; %bb.31:                               ;   in Loop: Header=BB0_28 Depth=2
	v_mov_b32_e32 v22, 1
	s_xor_b64 s[48:49], exec, -1
	ds_write_b32 v0, v4
	s_trap 2
	s_branch .LBB0_25
.LBB0_32:                               ;   in Loop: Header=BB0_21 Depth=1
	s_or_b64 exec, exec, s[22:23]
.LBB0_33:                               ;   in Loop: Header=BB0_21 Depth=1
	s_or_b64 exec, exec, s[20:21]
.LBB0_34:                               ;   in Loop: Header=BB0_21 Depth=1
	s_or_b64 exec, exec, s[18:19]
	s_and_saveexec_b64 s[18:19], s[4:5]
	s_cbranch_execz .LBB0_36
; %bb.35:                               ;   in Loop: Header=BB0_21 Depth=1
	v_and_b32_e32 v54, 0x7ffffff8, v14
	v_mov_b32_e32 v3, s25
	v_cmp_eq_u64_e32 vcc, s[40:41], v[54:55]
	v_accvgpr_read_b32 v4, a40
	s_nop 0
	v_cndmask_b32_e32 v4, v4, v3, vcc
	v_and_b32_e32 v3, 7, v14
	v_ashrrev_i32_e32 v5, 31, v4
	v_mad_u64_u32 v[8:9], s[20:21], v3, 24, v[12:13]
	flat_store_dwordx2 v[8:9], v[4:5] offset:8 sc0 sc1
	s_waitcnt vmcnt(0)
.LBB0_36:                               ;   in Loop: Header=BB0_21 Depth=1
	s_or_b64 exec, exec, s[18:19]
	v_mov_b64_e32 v[14:15], v[0:1]
.LBB0_37:                               ;   in Loop: Header=BB0_21 Depth=1
	s_or_b64 exec, exec, s[16:17]
	s_and_saveexec_b64 s[16:17], s[6:7]
	s_cbranch_execz .LBB0_56
; %bb.38:                               ;   in Loop: Header=BB0_21 Depth=1
	s_and_saveexec_b64 s[18:19], s[36:37]
	s_xor_b64 s[18:19], exec, s[18:19]
	s_cbranch_execz .LBB0_53
; %bb.39:                               ;   in Loop: Header=BB0_21 Depth=1
	s_and_saveexec_b64 s[20:21], s[8:9]
	s_cbranch_execz .LBB0_52
; %bb.40:                               ;   in Loop: Header=BB0_21 Depth=1
	s_mov_b64 s[42:43], exec
	v_mbcnt_lo_u32_b32 v0, s42, 0
	v_mbcnt_hi_u32_b32 v0, s43, v0
	v_cmp_eq_u32_e32 vcc, 0, v0
	s_waitcnt lgkmcnt(0)
	s_and_saveexec_b64 s[22:23], vcc
	s_cbranch_execz .LBB0_42
; %bb.41:                               ;   in Loop: Header=BB0_21 Depth=1
	s_bcnt1_i32_b64 vcc_lo, s[42:43]
	v_mov_b32_e32 v54, vcc_lo
	ds_add_u64 v0, v[54:55]
	s_trap 2
.LBB0_42:                               ;   in Loop: Header=BB0_21 Depth=1
	s_or_b64 exec, exec, s[22:23]
	s_trap 2
	ds_read_b64 v[0:1], v0
	v_accvgpr_read_b32 v4, a20
	v_accvgpr_read_b32 v5, a21
	v_lshl_add_u64 v[52:53], v[52:53], 0, v[4:5]
	s_waitcnt lgkmcnt(0)
	v_cmp_lt_u64_e32 vcc, v[0:1], v[52:53]
	s_and_saveexec_b64 s[22:23], vcc
	s_cbranch_execz .LBB0_51
; %bb.43:                               ;   in Loop: Header=BB0_21 Depth=1
	s_mov_b32 s52, 0
	s_mov_b64 s[42:43], 0
                                        ; implicit-def: $sgpr44_sgpr45
                                        ; implicit-def: $sgpr46_sgpr47
	s_branch .LBB0_45
.LBB0_44:                               ;   in Loop: Header=BB0_45 Depth=2
	s_or_b64 exec, exec, s[50:51]
	s_and_b64 vcc, exec, vcc
	s_or_b64 s[42:43], vcc, s[42:43]
	s_andn2_b64 vcc, s[44:45], exec
	s_and_b64 s[44:45], s[46:47], exec
	s_or_b64 s[44:45], vcc, s[44:45]
	s_andn2_b64 exec, exec, s[42:43]
	s_cbranch_execz .LBB0_49
.LBB0_45:                               ;   Parent Loop BB0_21 Depth=1
                                        ; =>  This Inner Loop Header: Depth=2
	s_add_i32 s52, s52, 1
	s_cmpk_lg_i32 s52, 0x2710
	s_cselect_b64 s[48:49], -1, 0
	s_and_b64 vcc, exec, s[48:49]
                                        ; implicit-def: $sgpr50_sgpr51
	s_cbranch_vccnz .LBB0_47
; %bb.46:                               ;   in Loop: Header=BB0_45 Depth=2
	s_trap 2
	ds_read_b64 v[0:1], v0
	s_andn2_b64 s[48:49], s[48:49], exec
	s_mov_b32 s52, 0
	s_mov_b64 s[50:51], -1
	s_waitcnt vmcnt(0) lgkmcnt(0)
	flat_load_dword v0, v[0:1] sc0 sc1
	s_waitcnt vmcnt(0) lgkmcnt(0)
	buffer_inv sc0 sc1
	v_cmp_eq_u32_e32 vcc, 0, v0
	s_and_b64 vcc, vcc, exec
	s_or_b64 s[48:49], s[48:49], vcc
.LBB0_47:                               ;   in Loop: Header=BB0_45 Depth=2
	s_andn2_b64 s[46:47], s[46:47], exec
	s_and_b64 s[50:51], s[50:51], exec
	s_mov_b64 vcc, -1
	s_or_b64 s[46:47], s[46:47], s[50:51]
	s_and_saveexec_b64 s[50:51], s[48:49]
	s_cbranch_execz .LBB0_44
; %bb.48:                               ;   in Loop: Header=BB0_45 Depth=2
	s_sleep 1
	s_trap 2
	ds_read_b64 v[0:1], v0
	s_andn2_b64 s[46:47], s[46:47], exec
	s_waitcnt lgkmcnt(0)
	v_cmp_ge_u64_e32 vcc, v[0:1], v[52:53]
	s_orn2_b64 vcc, vcc, exec
	s_branch .LBB0_44
.LBB0_49:                               ;   in Loop: Header=BB0_21 Depth=1
	s_or_b64 exec, exec, s[42:43]
	s_and_saveexec_b64 vcc, s[44:45]
	s_xor_b64 vcc, exec, vcc
	s_cbranch_execz .LBB0_51
; %bb.50:                               ;   in Loop: Header=BB0_21 Depth=1
	v_mov_b32_e32 v0, 1
	ds_write_b32 v0, v0
	s_trap 2
.LBB0_51:                               ;   in Loop: Header=BB0_21 Depth=1
	s_or_b64 exec, exec, s[22:23]
	;;#ASMSTART
	s_wakeup
	;;#ASMEND
.LBB0_52:                               ;   in Loop: Header=BB0_21 Depth=1
	s_or_b64 exec, exec, s[20:21]
.LBB0_53:                               ;   in Loop: Header=BB0_21 Depth=1
	s_andn2_saveexec_b64 s[18:19], s[18:19]
	s_cbranch_execz .LBB0_55
; %bb.54:                               ;   in Loop: Header=BB0_21 Depth=1
	s_waitcnt lgkmcnt(0)
	s_barrier
.LBB0_55:                               ;   in Loop: Header=BB0_21 Depth=1
	s_or_b64 exec, exec, s[18:19]
.LBB0_56:                               ;   in Loop: Header=BB0_21 Depth=1
	s_or_b64 exec, exec, s[16:17]
	v_accvgpr_read_b32 v0, a22
	v_accvgpr_read_b32 v1, a23
	v_sub_u32_e32 v17, v2, v0
	v_cmp_lt_i32_e64 s[16:17], 0, v17
	v_and_b32_e32 v1, 7, v42
	v_mov_b32_e32 v0, v24
	s_and_saveexec_b64 s[18:19], s[16:17]
	s_cbranch_execz .LBB0_64
; %bb.57:                               ;   in Loop: Header=BB0_21 Depth=1
	v_accvgpr_read_b32 v4, a28
	v_accvgpr_read_b32 v20, a32
	s_waitcnt vmcnt(0) lgkmcnt(0)
	v_ashrrev_i32_e32 v0, 31, v6
	v_accvgpr_read_b32 v5, a29
	v_accvgpr_read_b32 v21, a33
	v_mad_u64_u32 v[4:5], s[20:21], v20, v6, v[4:5]
	v_mul_lo_u32 v7, v21, v6
	v_mul_lo_u32 v0, v20, v0
	;; [unrolled: 1-line block ×3, first 2 shown]
	v_add3_u32 v5, v7, v5, v0
	v_accvgpr_read_b32 v0, a34
	v_accvgpr_read_b32 v7, a36
	;; [unrolled: 1-line block ×3, first 2 shown]
	v_ashrrev_i32_e32 v9, 31, v8
	v_mov_b32_e32 v2, v55
	v_mov_b32_e32 v3, v42
	v_mad_u64_u32 v[6:7], s[20:21], v7, v6, v[0:1]
	v_accvgpr_read_b32 v21, a39
	v_lshl_add_u64 v[2:3], v[2:3], 0, s[30:31]
	v_lshl_add_u64 v[8:9], v[8:9], 4, v[20:21]
	s_mov_b64 s[20:21], 0
	v_mov_b32_e32 v7, v17
	v_mov_b32_e32 v0, v24
	s_branch .LBB0_59
.LBB0_58:                               ;   in Loop: Header=BB0_59 Depth=2
	s_or_b64 exec, exec, s[22:23]
	s_waitcnt vmcnt(0)
	v_alignbit_b32 v20, v25, v23, v6
	v_alignbit_b32 v21, v31, v25, v6
	v_sub_u32_e32 v7, v7, v56
	v_or_b32_e32 v44, v2, v20
	v_or_b32_e32 v46, v2, v21
	v_mov_b32_e32 v45, v3
	v_mov_b32_e32 v47, v3
	v_accvgpr_read_b32 v20, a37
	v_cmp_gt_i32_e32 vcc, 1, v7
	global_store_dwordx4 v[8:9], v[44:47], off
	v_add_u32_e32 v0, v0, v16
	v_lshl_add_u64 v[4:5], v[4:5], 0, v[60:61]
	v_add_u32_e32 v6, v6, v20
	s_or_b64 s[20:21], vcc, s[20:21]
	v_lshl_add_u64 v[8:9], v[8:9], 0, v[58:59]
	s_andn2_b64 exec, exec, s[20:21]
	s_cbranch_execz .LBB0_63
.LBB0_59:                               ;   Parent Loop BB0_21 Depth=1
                                        ; =>  This Inner Loop Header: Depth=2
	v_and_b32_e32 v20, -4, v4
	v_mov_b32_e32 v21, v5
	global_load_dword v23, v[20:21], off nt
	v_min_u32_e32 v25, 4, v7
	v_and_b32_e32 v30, 3, v4
	v_mov_b32_e32 v31, 0
	v_lshlrev_b32_e32 v54, 1, v25
	v_lshl_add_u64 v[50:51], v[30:31], 0, v[54:55]
	v_cmp_lt_u64_e32 vcc, 4, v[50:51]
	v_mov_b32_e32 v25, 0
	s_and_saveexec_b64 s[22:23], vcc
	s_cbranch_execz .LBB0_61
; %bb.60:                               ;   in Loop: Header=BB0_59 Depth=2
	global_load_dword v25, v[20:21], off offset:4 nt
.LBB0_61:                               ;   in Loop: Header=BB0_59 Depth=2
	s_or_b64 exec, exec, s[22:23]
	v_cmp_lt_u64_e32 vcc, 8, v[50:51]
	s_and_saveexec_b64 s[22:23], vcc
	s_cbranch_execz .LBB0_58
; %bb.62:                               ;   in Loop: Header=BB0_59 Depth=2
	global_load_dword v31, v[20:21], off offset:8 nt
	s_branch .LBB0_58
.LBB0_63:                               ;   in Loop: Header=BB0_21 Depth=1
	s_or_b64 exec, exec, s[20:21]
.LBB0_64:                               ;   in Loop: Header=BB0_21 Depth=1
	s_or_b64 exec, exec, s[18:19]
	v_and_b32_e32 v54, 0x7ffffff8, v42
	v_cmp_eq_u64_e32 vcc, s[40:41], v[54:55]
	v_cmp_gt_i32_e64 s[18:19], s54, v0
	s_and_b64 s[20:21], vcc, s[18:19]
	s_and_saveexec_b64 s[18:19], s[20:21]
	s_cbranch_execz .LBB0_67
; %bb.65:                               ;   in Loop: Header=BB0_21 Depth=1
	v_mul_lo_u32 v4, v1, s54
	v_ashrrev_i32_e32 v5, 31, v4
	v_ashrrev_i32_e32 v1, 31, v0
	v_lshlrev_b64 v[4:5], 4, v[4:5]
	v_mov_b32_e32 v2, v55
	v_mov_b32_e32 v3, v42
	v_lshl_add_u64 v[4:5], v[0:1], 4, v[4:5]
	v_lshl_add_u64 v[2:3], v[2:3], 0, s[30:31]
	s_waitcnt vmcnt(0) lgkmcnt(0)
	v_lshl_add_u64 v[6:7], v[32:33], 0, v[4:5]
	s_mov_b64 s[20:21], 0
.LBB0_66:                               ;   Parent Loop BB0_21 Depth=1
                                        ; =>  This Inner Loop Header: Depth=2
	v_add_u32_e32 v0, v0, v16
	v_mov_b32_e32 v4, v2
	v_mov_b32_e32 v5, v3
	v_cmp_le_i32_e32 vcc, s54, v0
	global_store_dwordx4 v[6:7], v[2:5], off
	s_or_b64 s[20:21], vcc, s[20:21]
	v_lshl_add_u64 v[6:7], v[6:7], 0, v[58:59]
	s_andn2_b64 exec, exec, s[20:21]
	s_cbranch_execnz .LBB0_66
.LBB0_67:                               ;   in Loop: Header=BB0_21 Depth=1
	s_or_b64 exec, exec, s[18:19]
	v_accvgpr_read_b32 v0, a4
	v_accvgpr_read_b32 v1, a5
	s_waitcnt vmcnt(0) lgkmcnt(0)
	v_accvgpr_read_b32 v6, a6
	v_lshl_add_u64 v[2:3], v[10:11], 0, v[0:1]
	s_andn2_b64 vcc, exec, s[38:39]
	v_lshl_add_u64 v[30:31], v[42:43], 0, 1
	v_accvgpr_read_b32 v7, a7
	s_cbranch_vccnz .LBB0_197
; %bb.68:                               ;   in Loop: Header=BB0_21 Depth=1
	v_accvgpr_read_b32 v0, a24
	v_accvgpr_read_b32 v1, a25
	v_accvgpr_write_b32 a43, v3
	v_accvgpr_write_b32 a42, v2
	v_lshl_add_u64 v[20:21], v[2:3], 1, v[0:1]
	v_add_u16_e32 v25, 1, v42
	s_mov_b32 s58, 2
	s_branch .LBB0_70
.LBB0_69:                               ;   in Loop: Header=BB0_70 Depth=2
	s_or_b64 exec, exec, s[18:19]
	s_add_i32 s58, s58, 1
	v_lshl_add_u64 v[28:29], v[28:29], 0, 1
	v_lshl_add_u64 v[30:31], v[30:31], 0, 1
	s_cmp_eq_u32 s58, s24
	v_add_u16_e32 v25, 1, v25
	s_cbranch_scc1 .LBB0_198
.LBB0_70:                               ;   Parent Loop BB0_21 Depth=1
                                        ; =>  This Loop Header: Depth=2
                                        ;       Child Loop BB0_85 Depth 3
                                        ;       Child Loop BB0_101 Depth 3
	;; [unrolled: 1-line block ×3, first 2 shown]
                                        ;         Child Loop BB0_124 Depth 4
                                        ;       Child Loop BB0_186 Depth 3
                                        ;       Child Loop BB0_78 Depth 3
	s_sub_i32 s18, s24, s58
	s_ashr_i32 s19, s18, 31
	s_lshl_b64 s[18:19], s[18:19], 2
	v_lshl_add_u64 v[0:1], v[18:19], 0, s[18:19]
	s_waitcnt vmcnt(0) lgkmcnt(0)
	flat_load_dword v2, v[0:1]
	s_and_saveexec_b64 s[18:19], s[2:3]
	s_cbranch_execnz .LBB0_79
; %bb.71:                               ;   in Loop: Header=BB0_70 Depth=2
	s_or_b64 exec, exec, s[18:19]
	s_and_saveexec_b64 s[18:19], s[6:7]
	s_cbranch_execnz .LBB0_94
.LBB0_72:                               ;   in Loop: Header=BB0_70 Depth=2
	s_or_b64 exec, exec, s[18:19]
	v_mov_b32_e32 v42, v24
	s_and_saveexec_b64 s[42:43], s[16:17]
	s_cbranch_execnz .LBB0_112
.LBB0_73:                               ;   in Loop: Header=BB0_70 Depth=2
	s_or_b64 exec, exec, s[42:43]
	s_and_saveexec_b64 s[18:19], s[6:7]
	s_cbranch_execnz .LBB0_179
.LBB0_74:                               ;   in Loop: Header=BB0_70 Depth=2
	s_or_b64 exec, exec, s[18:19]
	s_and_saveexec_b64 s[18:19], s[12:13]
	s_cbranch_execz .LBB0_76
.LBB0_75:                               ;   in Loop: Header=BB0_70 Depth=2
	v_accvgpr_read_b32 v0, a16
	v_lshl_add_u64 v[34:35], v[34:35], 0, 1
	v_accvgpr_read_b32 v1, a17
	flat_store_dwordx2 v[0:1], v[34:35] sc0 sc1
.LBB0_76:                               ;   in Loop: Header=BB0_70 Depth=2
	s_or_b64 exec, exec, s[18:19]
	v_and_b32_e32 v54, 0x7ffffff8, v30
	v_cmp_eq_u64_e32 vcc, s[40:41], v[54:55]
	v_cmp_gt_i32_e64 s[18:19], s54, v42
	s_and_b64 s[20:21], vcc, s[18:19]
	s_and_saveexec_b64 s[18:19], s[20:21]
	s_cbranch_execz .LBB0_69
; %bb.77:                               ;   in Loop: Header=BB0_70 Depth=2
	v_and_b32_e32 v0, 7, v25
	v_mul_lo_u32 v0, s54, v0
	v_ashrrev_i32_e32 v1, 31, v0
	v_lshlrev_b64 v[0:1], 4, v[0:1]
	v_ashrrev_i32_e32 v43, 31, v42
	s_waitcnt vmcnt(0) lgkmcnt(0)
	v_mov_b32_e32 v2, v55
	v_mov_b32_e32 v3, v30
	v_lshl_add_u64 v[0:1], v[42:43], 4, v[0:1]
	v_lshl_add_u64 v[2:3], v[2:3], 0, s[30:31]
	;; [unrolled: 1-line block ×3, first 2 shown]
	s_mov_b64 s[20:21], 0
.LBB0_78:                               ;   Parent Loop BB0_21 Depth=1
                                        ;     Parent Loop BB0_70 Depth=2
                                        ; =>    This Inner Loop Header: Depth=3
	v_add_u32_e32 v42, v42, v16
	v_mov_b32_e32 v4, v2
	v_mov_b32_e32 v5, v3
	v_cmp_le_i32_e32 vcc, s54, v42
	global_store_dwordx4 v[0:1], v[2:5], off
	s_or_b64 s[20:21], vcc, s[20:21]
	v_lshl_add_u64 v[0:1], v[0:1], 0, v[58:59]
	s_andn2_b64 exec, exec, s[20:21]
	s_cbranch_execnz .LBB0_78
	s_branch .LBB0_69
.LBB0_79:                               ;   in Loop: Header=BB0_70 Depth=2
	v_lshl_add_u64 v[0:1], v[14:15], 0, 1
	v_lshl_add_u64 v[4:5], v[48:49], 0, 8
	v_cmp_lt_u64_e32 vcc, v[4:5], v[0:1]
	s_and_saveexec_b64 s[20:21], vcc
	s_cbranch_execz .LBB0_91
; %bb.80:                               ;   in Loop: Header=BB0_70 Depth=2
	s_sleep 1
	flat_load_dwordx2 v[48:49], v[36:37] sc1
	v_cmp_eq_u32_e32 vcc, 0, v22
	s_and_saveexec_b64 s[22:23], vcc
	s_cbranch_execz .LBB0_90
; %bb.81:                               ;   in Loop: Header=BB0_70 Depth=2
	v_cndmask_b32_e64 v3, 0, 1, vcc
	s_mov_b64 s[42:43], 0
                                        ; implicit-def: $sgpr44_sgpr45
	s_branch .LBB0_85
.LBB0_82:                               ;   in Loop: Header=BB0_85 Depth=3
	s_or_b64 exec, exec, s[52:53]
	s_orn2_b64 s[50:51], s[50:51], exec
.LBB0_83:                               ;   in Loop: Header=BB0_85 Depth=3
	s_or_b64 exec, exec, s[48:49]
	s_xor_b64 vcc, s[50:51], -1
	s_andn2_b64 s[44:45], s[44:45], exec
	s_and_b64 vcc, vcc, exec
	s_or_b64 s[44:45], s[44:45], vcc
.LBB0_84:                               ;   in Loop: Header=BB0_85 Depth=3
	s_or_b64 exec, exec, s[46:47]
	s_and_b64 vcc, exec, s[44:45]
	s_or_b64 s[42:43], vcc, s[42:43]
	s_andn2_b64 exec, exec, s[42:43]
	s_cbranch_execz .LBB0_89
.LBB0_85:                               ;   Parent Loop BB0_21 Depth=1
                                        ;     Parent Loop BB0_70 Depth=2
                                        ; =>    This Inner Loop Header: Depth=3
	s_waitcnt vmcnt(0) lgkmcnt(0)
	v_lshl_add_u64 v[4:5], v[48:49], 0, 8
	v_cmp_lt_u64_e32 vcc, v[4:5], v[0:1]
	v_mov_b32_e32 v22, 0
	s_or_b64 s[44:45], s[44:45], exec
	s_and_saveexec_b64 s[46:47], vcc
	s_cbranch_execz .LBB0_84
; %bb.86:                               ;   in Loop: Header=BB0_85 Depth=3
	s_sleep 1
	flat_load_dwordx2 v[48:49], v[36:37] sc1
	v_add_u32_e32 v3, 1, v3
	v_cmp_eq_u32_e32 vcc, s55, v3
	s_mov_b64 s[50:51], -1
	v_mov_b32_e32 v22, 0
	s_and_saveexec_b64 s[48:49], vcc
	s_cbranch_execz .LBB0_83
; %bb.87:                               ;   in Loop: Header=BB0_85 Depth=3
	s_trap 2
	ds_read_b64 v[4:5], v0
	v_mov_b32_e32 v3, 0
	v_mov_b32_e32 v22, 0
	s_waitcnt vmcnt(0) lgkmcnt(0)
	flat_load_dword v4, v[4:5] sc0 sc1
	s_waitcnt vmcnt(0) lgkmcnt(0)
	buffer_inv sc0 sc1
	v_cmp_ne_u32_e32 vcc, 0, v4
	s_and_saveexec_b64 s[52:53], vcc
	s_cbranch_execz .LBB0_82
; %bb.88:                               ;   in Loop: Header=BB0_85 Depth=3
	v_mov_b32_e32 v22, 1
	s_xor_b64 s[50:51], exec, -1
	ds_write_b32 v0, v4
	s_trap 2
	s_branch .LBB0_82
.LBB0_89:                               ;   in Loop: Header=BB0_70 Depth=2
	s_or_b64 exec, exec, s[42:43]
.LBB0_90:                               ;   in Loop: Header=BB0_70 Depth=2
	s_or_b64 exec, exec, s[22:23]
.LBB0_91:                               ;   in Loop: Header=BB0_70 Depth=2
	s_or_b64 exec, exec, s[20:21]
	s_and_saveexec_b64 s[20:21], s[4:5]
	s_cbranch_execz .LBB0_93
; %bb.92:                               ;   in Loop: Header=BB0_70 Depth=2
	v_and_b32_e32 v54, 0x7ffffff8, v14
	v_mov_b32_e32 v3, s25
	v_cmp_eq_u64_e32 vcc, s[40:41], v[54:55]
	v_accvgpr_read_b32 v4, a40
	s_nop 0
	v_cndmask_b32_e32 v4, v4, v3, vcc
	v_and_b32_e32 v3, 7, v14
	v_ashrrev_i32_e32 v5, 31, v4
	v_mad_u64_u32 v[6:7], s[22:23], v3, 24, v[12:13]
	flat_store_dwordx2 v[6:7], v[4:5] offset:8 sc0 sc1
	s_waitcnt vmcnt(0)
	v_accvgpr_read_b32 v6, a6
	v_accvgpr_read_b32 v7, a7
.LBB0_93:                               ;   in Loop: Header=BB0_70 Depth=2
	s_or_b64 exec, exec, s[20:21]
	v_mov_b64_e32 v[14:15], v[0:1]
	s_or_b64 exec, exec, s[18:19]
	s_and_saveexec_b64 s[18:19], s[6:7]
	s_cbranch_execz .LBB0_72
.LBB0_94:                               ;   in Loop: Header=BB0_70 Depth=2
	s_and_saveexec_b64 s[20:21], s[36:37]
	s_xor_b64 s[20:21], exec, s[20:21]
	s_cbranch_execz .LBB0_109
; %bb.95:                               ;   in Loop: Header=BB0_70 Depth=2
	s_and_saveexec_b64 s[22:23], s[8:9]
	s_cbranch_execz .LBB0_108
; %bb.96:                               ;   in Loop: Header=BB0_70 Depth=2
	s_mov_b64 s[44:45], exec
	v_mbcnt_lo_u32_b32 v0, s44, 0
	v_mbcnt_hi_u32_b32 v0, s45, v0
	v_cmp_eq_u32_e32 vcc, 0, v0
	s_waitcnt lgkmcnt(0)
	s_and_saveexec_b64 s[42:43], vcc
	s_cbranch_execz .LBB0_98
; %bb.97:                               ;   in Loop: Header=BB0_70 Depth=2
	s_bcnt1_i32_b64 vcc_lo, s[44:45]
	v_mov_b32_e32 v54, vcc_lo
	ds_add_u64 v0, v[54:55]
	s_trap 2
.LBB0_98:                               ;   in Loop: Header=BB0_70 Depth=2
	s_or_b64 exec, exec, s[42:43]
	s_trap 2
	ds_read_b64 v[0:1], v0
	v_accvgpr_read_b32 v4, a20
	v_accvgpr_read_b32 v5, a21
	v_lshl_add_u64 v[52:53], v[52:53], 0, v[4:5]
	s_waitcnt lgkmcnt(0)
	v_cmp_lt_u64_e32 vcc, v[0:1], v[52:53]
	s_and_saveexec_b64 s[42:43], vcc
	s_cbranch_execz .LBB0_107
; %bb.99:                               ;   in Loop: Header=BB0_70 Depth=2
	s_mov_b32 s59, 0
	s_mov_b64 s[44:45], 0
                                        ; implicit-def: $sgpr46_sgpr47
                                        ; implicit-def: $sgpr48_sgpr49
	s_branch .LBB0_101
.LBB0_100:                              ;   in Loop: Header=BB0_101 Depth=3
	s_or_b64 exec, exec, s[52:53]
	s_and_b64 vcc, exec, vcc
	s_or_b64 s[44:45], vcc, s[44:45]
	s_andn2_b64 vcc, s[46:47], exec
	s_and_b64 s[46:47], s[48:49], exec
	s_or_b64 s[46:47], vcc, s[46:47]
	s_andn2_b64 exec, exec, s[44:45]
	s_cbranch_execz .LBB0_105
.LBB0_101:                              ;   Parent Loop BB0_21 Depth=1
                                        ;     Parent Loop BB0_70 Depth=2
                                        ; =>    This Inner Loop Header: Depth=3
	s_add_i32 s59, s59, 1
	s_cmpk_lg_i32 s59, 0x2710
	s_cselect_b64 s[50:51], -1, 0
	s_and_b64 vcc, exec, s[50:51]
                                        ; implicit-def: $sgpr52_sgpr53
	s_cbranch_vccnz .LBB0_103
; %bb.102:                              ;   in Loop: Header=BB0_101 Depth=3
	s_trap 2
	ds_read_b64 v[0:1], v0
	s_andn2_b64 s[50:51], s[50:51], exec
	s_mov_b32 s59, 0
	s_mov_b64 s[52:53], -1
	s_waitcnt vmcnt(0) lgkmcnt(0)
	flat_load_dword v0, v[0:1] sc0 sc1
	s_waitcnt vmcnt(0) lgkmcnt(0)
	buffer_inv sc0 sc1
	v_cmp_eq_u32_e32 vcc, 0, v0
	s_and_b64 vcc, vcc, exec
	s_or_b64 s[50:51], s[50:51], vcc
.LBB0_103:                              ;   in Loop: Header=BB0_101 Depth=3
	s_andn2_b64 s[48:49], s[48:49], exec
	s_and_b64 s[52:53], s[52:53], exec
	s_mov_b64 vcc, -1
	s_or_b64 s[48:49], s[48:49], s[52:53]
	s_and_saveexec_b64 s[52:53], s[50:51]
	s_cbranch_execz .LBB0_100
; %bb.104:                              ;   in Loop: Header=BB0_101 Depth=3
	s_sleep 1
	s_trap 2
	ds_read_b64 v[0:1], v0
	s_andn2_b64 s[48:49], s[48:49], exec
	s_waitcnt lgkmcnt(0)
	v_cmp_ge_u64_e32 vcc, v[0:1], v[52:53]
	s_orn2_b64 vcc, vcc, exec
	s_branch .LBB0_100
.LBB0_105:                              ;   in Loop: Header=BB0_70 Depth=2
	s_or_b64 exec, exec, s[44:45]
	s_and_saveexec_b64 vcc, s[46:47]
	s_xor_b64 vcc, exec, vcc
	s_cbranch_execz .LBB0_107
; %bb.106:                              ;   in Loop: Header=BB0_70 Depth=2
	v_mov_b32_e32 v0, 1
	ds_write_b32 v0, v0
	s_trap 2
.LBB0_107:                              ;   in Loop: Header=BB0_70 Depth=2
	s_or_b64 exec, exec, s[42:43]
	;;#ASMSTART
	s_wakeup
	;;#ASMEND
.LBB0_108:                              ;   in Loop: Header=BB0_70 Depth=2
	s_or_b64 exec, exec, s[22:23]
.LBB0_109:                              ;   in Loop: Header=BB0_70 Depth=2
	s_andn2_saveexec_b64 s[20:21], s[20:21]
	s_cbranch_execz .LBB0_111
; %bb.110:                              ;   in Loop: Header=BB0_70 Depth=2
	s_waitcnt lgkmcnt(0)
	s_barrier
.LBB0_111:                              ;   in Loop: Header=BB0_70 Depth=2
	s_or_b64 exec, exec, s[20:21]
	s_or_b64 exec, exec, s[18:19]
	v_mov_b32_e32 v42, v24
	s_and_saveexec_b64 s[42:43], s[16:17]
	s_cbranch_execz .LBB0_73
.LBB0_112:                              ;   in Loop: Header=BB0_70 Depth=2
	s_waitcnt vmcnt(0) lgkmcnt(0)
	v_ashrrev_i32_e32 v0, 31, v2
	v_mul_lo_u32 v3, v41, v2
	v_mul_lo_u32 v4, v40, v0
	v_mad_u64_u32 v[0:1], s[18:19], v40, v2, 0
	v_and_b32_e32 v2, 7, v28
	v_add3_u32 v1, v1, v4, v3
	v_mul_lo_u32 v2, v2, s54
	v_accvgpr_read_b32 v4, a14
	v_ashrrev_i32_e32 v3, 31, v2
	v_accvgpr_read_b32 v5, a15
	v_lshl_add_u64 v[44:45], v[2:3], 4, v[4:5]
	v_and_b32_e32 v2, 7, v30
	v_mul_lo_u32 v2, v2, s54
	v_ashrrev_i32_e32 v3, 31, v2
	v_lshl_add_u64 v[50:51], v[2:3], 4, v[32:33]
	v_mov_b32_e32 v2, v55
	v_mov_b32_e32 v3, v30
	v_lshl_add_u64 v[0:1], v[0:1], 1, v[20:21]
	v_add_u32_e32 v26, 1, v28
	v_lshl_add_u64 v[6:7], v[2:3], 0, s[30:31]
	s_mov_b64 s[44:45], 0
	v_mov_b32_e32 v27, v17
	v_mov_b32_e32 v42, v24
	s_branch .LBB0_116
.LBB0_113:                              ;   in Loop: Header=BB0_116 Depth=3
	s_or_b64 exec, exec, s[46:47]
	v_mov_b32_e32 v4, v9
.LBB0_114:                              ;   in Loop: Header=BB0_116 Depth=3
	s_or_b64 exec, exec, s[48:49]
.LBB0_115:                              ;   in Loop: Header=BB0_116 Depth=3
	s_or_b64 exec, exec, s[22:23]
	v_sub_u32_e32 v27, v27, v56
	v_lshlrev_b32_e32 v2, 16, v2
	v_and_b32_e32 v23, 0xffff, v3
	v_and_b32_e32 v5, 0xffff, v5
	v_lshlrev_b32_e32 v4, 16, v4
	v_or3_b32 v3, 0, 0, v7
	v_cmp_gt_i32_e32 vcc, 1, v27
	v_lshl_add_u64 v[0:1], v[56:57], 1, v[0:1]
	v_lshl_add_u64 v[8:9], v[42:43], 4, v[50:51]
	v_or3_b32 v2, v2, v23, v6
	v_or3_b32 v4, v4, v5, v6
	v_mov_b32_e32 v5, v3
	s_or_b64 s[44:45], vcc, s[44:45]
	v_add_u32_e32 v42, v42, v16
	global_store_dwordx4 v[8:9], v[2:5], off
	s_andn2_b64 exec, exec, s[44:45]
	s_cbranch_execz .LBB0_178
.LBB0_116:                              ;   Parent Loop BB0_21 Depth=1
                                        ;     Parent Loop BB0_70 Depth=2
                                        ; =>    This Loop Header: Depth=3
                                        ;         Child Loop BB0_124 Depth 4
	v_and_b32_e32 v2, -4, v0
	v_mov_b32_e32 v3, v1
	global_load_dword v23, v[2:3], off nt
	v_min_u32_e32 v4, 4, v27
	v_and_b32_e32 v46, 3, v0
	v_mov_b32_e32 v47, 0
	v_lshlrev_b32_e32 v54, 1, v4
	v_lshl_add_u64 v[4:5], v[46:47], 0, v[54:55]
	v_cmp_lt_u64_e32 vcc, 4, v[4:5]
	v_mov_b32_e32 v54, 0
	s_and_saveexec_b64 s[18:19], vcc
	s_cbranch_execz .LBB0_118
; %bb.117:                              ;   in Loop: Header=BB0_116 Depth=3
	global_load_dword v54, v[2:3], off offset:4 nt
.LBB0_118:                              ;   in Loop: Header=BB0_116 Depth=3
	s_or_b64 exec, exec, s[18:19]
	v_cmp_lt_u64_e32 vcc, 8, v[4:5]
	s_and_saveexec_b64 s[18:19], vcc
	s_cbranch_execz .LBB0_120
; %bb.119:                              ;   in Loop: Header=BB0_116 Depth=3
	global_load_dword v47, v[2:3], off offset:8 nt
.LBB0_120:                              ;   in Loop: Header=BB0_116 Depth=3
	s_or_b64 exec, exec, s[18:19]
	v_ashrrev_i32_e32 v43, 31, v42
	v_lshl_add_u64 v[8:9], v[42:43], 4, v[44:45]
	global_load_dwordx4 v[2:5], v[8:9], off nt
	v_cmp_eq_u32_e32 vcc, 0, v22
	s_and_saveexec_b64 s[20:21], vcc
	s_cbranch_execz .LBB0_132
; %bb.121:                              ;   in Loop: Header=BB0_116 Depth=3
	s_waitcnt vmcnt(0)
	v_cmp_ne_u32_e32 vcc, v26, v3
	v_cmp_ne_u32_e64 s[18:19], v26, v5
	s_or_b64 s[18:19], vcc, s[18:19]
	v_mov_b32_e32 v22, 0
	s_and_saveexec_b64 s[22:23], s[18:19]
	s_cbranch_execz .LBB0_131
; %bb.122:                              ;   in Loop: Header=BB0_116 Depth=3
	s_mov_b32 s50, 1
	s_mov_b64 s[46:47], 0
	v_mov_b32_e32 v22, 0
	s_branch .LBB0_124
.LBB0_123:                              ;   in Loop: Header=BB0_124 Depth=4
	s_or_b64 exec, exec, s[48:49]
	s_and_b64 s[18:19], exec, s[18:19]
	s_or_b64 s[46:47], s[18:19], s[46:47]
	s_andn2_b64 exec, exec, s[46:47]
	s_cbranch_execz .LBB0_130
.LBB0_124:                              ;   Parent Loop BB0_21 Depth=1
                                        ;     Parent Loop BB0_70 Depth=2
                                        ;       Parent Loop BB0_116 Depth=3
                                        ; =>      This Inner Loop Header: Depth=4
	global_load_dwordx4 v[2:5], v[8:9], off nt
	s_add_i32 s50, s50, 1
	s_cmpk_lg_i32 s50, 0x2710
	s_cbranch_scc1 .LBB0_128
; %bb.125:                              ;   in Loop: Header=BB0_124 Depth=4
	s_trap 2
	ds_read_b64 v[38:39], v0
	s_waitcnt vmcnt(0) lgkmcnt(0)
	flat_load_dword v46, v[38:39] sc0 sc1
	s_waitcnt vmcnt(0) lgkmcnt(0)
	buffer_inv sc0 sc1
	v_cmp_ne_u32_e32 vcc, 0, v46
	s_and_saveexec_b64 s[18:19], vcc
	s_cbranch_execz .LBB0_127
; %bb.126:                              ;   in Loop: Header=BB0_124 Depth=4
	v_mov_b32_e32 v22, 1
	ds_write_b32 v0, v46
	s_trap 2
.LBB0_127:                              ;   in Loop: Header=BB0_124 Depth=4
	s_or_b64 exec, exec, s[18:19]
	s_mov_b32 s50, 0
	v_mov_b32_e32 v46, v22
	v_cmp_eq_u32_e32 vcc, 0, v46
	s_mov_b64 s[18:19], -1
	s_and_saveexec_b64 s[48:49], vcc
	s_cbranch_execz .LBB0_123
	s_branch .LBB0_129
.LBB0_128:                              ;   in Loop: Header=BB0_124 Depth=4
	v_mov_b32_e32 v46, 0
	v_cmp_eq_u32_e32 vcc, 0, v46
	s_mov_b64 s[18:19], -1
	s_and_saveexec_b64 s[48:49], vcc
	s_cbranch_execz .LBB0_123
.LBB0_129:                              ;   in Loop: Header=BB0_124 Depth=4
	s_waitcnt vmcnt(0)
	v_cmp_eq_u32_e32 vcc, v26, v3
	v_cmp_eq_u32_e64 s[18:19], v26, v5
	s_and_b64 s[18:19], vcc, s[18:19]
	s_orn2_b64 s[18:19], s[18:19], exec
	s_branch .LBB0_123
.LBB0_130:                              ;   in Loop: Header=BB0_116 Depth=3
	s_or_b64 exec, exec, s[46:47]
.LBB0_131:                              ;   in Loop: Header=BB0_116 Depth=3
	s_or_b64 exec, exec, s[22:23]
.LBB0_132:                              ;   in Loop: Header=BB0_116 Depth=3
	s_or_b64 exec, exec, s[20:21]
	s_waitcnt vmcnt(0)
	v_lshlrev_b32_e32 v5, 3, v0
	v_alignbit_b32 v8, v54, v23, v5
	v_and_b32_e32 v3, 0x7fff, v2
	v_and_b32_e32 v9, 0x7fff, v8
	v_cmp_lt_u16_e32 vcc, s56, v3
	v_cmp_gt_u16_e64 s[18:19], s57, v9
	s_and_b64 s[20:21], s[18:19], vcc
	s_xor_b64 s[46:47], s[20:21], -1
                                        ; implicit-def: $vgpr3
	s_and_saveexec_b64 s[20:21], s[10:11]
	s_xor_b64 s[48:49], exec, s[20:21]
	s_cbranch_execz .LBB0_138
; %bb.133:                              ;   in Loop: Header=BB0_116 Depth=3
	v_mov_b32_e32 v3, v8
	s_and_saveexec_b64 s[50:51], s[46:47]
	s_cbranch_execz .LBB0_137
; %bb.134:                              ;   in Loop: Header=BB0_116 Depth=3
	s_or_b64 s[20:21], s[18:19], vcc
	v_mov_b32_e32 v3, v2
	s_and_saveexec_b64 s[52:53], s[20:21]
; %bb.135:                              ;   in Loop: Header=BB0_116 Depth=3
	v_cmp_lt_u16_e64 s[20:21], s56, v9
	v_cmp_gt_f16_e64 s[22:23], v2, v8
	s_and_b64 s[20:21], s[20:21], vcc
	s_nop 0
	v_cndmask_b32_e64 v3, v8, v2, s[22:23]
	v_cndmask_b32_e64 v3, v3, v62, s[20:21]
; %bb.136:                              ;   in Loop: Header=BB0_116 Depth=3
	s_or_b64 exec, exec, s[52:53]
.LBB0_137:                              ;   in Loop: Header=BB0_116 Depth=3
	s_or_b64 exec, exec, s[50:51]
                                        ; implicit-def: $vgpr9
.LBB0_138:                              ;   in Loop: Header=BB0_116 Depth=3
	s_andn2_saveexec_b64 s[22:23], s[48:49]
	s_cbranch_execz .LBB0_144
; %bb.139:                              ;   in Loop: Header=BB0_116 Depth=3
	v_mov_b32_e32 v3, v8
	s_and_saveexec_b64 s[48:49], s[46:47]
	s_cbranch_execz .LBB0_143
; %bb.140:                              ;   in Loop: Header=BB0_116 Depth=3
	s_or_b64 s[18:19], s[18:19], vcc
	v_mov_b32_e32 v3, v2
	s_and_saveexec_b64 s[46:47], s[18:19]
; %bb.141:                              ;   in Loop: Header=BB0_116 Depth=3
	v_cmp_lt_u16_e64 s[18:19], s56, v9
	v_cmp_gt_f16_e64 s[20:21], v2, v8
	s_and_b64 vcc, s[18:19], vcc
	s_nop 0
	v_cndmask_b32_e64 v3, v2, v8, s[20:21]
	v_cndmask_b32_e32 v3, v3, v62, vcc
; %bb.142:                              ;   in Loop: Header=BB0_116 Depth=3
	s_or_b64 exec, exec, s[46:47]
.LBB0_143:                              ;   in Loop: Header=BB0_116 Depth=3
	s_or_b64 exec, exec, s[48:49]
.LBB0_144:                              ;   in Loop: Header=BB0_116 Depth=3
	s_or_b64 exec, exec, s[22:23]
	v_lshrrev_b32_e32 v9, 16, v2
	v_lshrrev_b32_e32 v2, 16, v8
	v_and_b32_e32 v8, 0x7fff, v9
	v_cmp_lt_u16_e32 vcc, s56, v8
	v_and_b32_e32 v8, 0x7fff, v2
	v_cmp_gt_u16_e64 s[18:19], s57, v8
	s_and_b64 s[20:21], s[18:19], vcc
	s_xor_b64 s[46:47], s[20:21], -1
	s_and_saveexec_b64 s[20:21], s[10:11]
	s_xor_b64 s[48:49], exec, s[20:21]
	s_cbranch_execz .LBB0_150
; %bb.145:                              ;   in Loop: Header=BB0_116 Depth=3
	s_and_saveexec_b64 s[50:51], s[46:47]
	s_cbranch_execz .LBB0_149
; %bb.146:                              ;   in Loop: Header=BB0_116 Depth=3
	s_or_b64 s[20:21], s[18:19], vcc
	s_and_saveexec_b64 s[52:53], s[20:21]
; %bb.147:                              ;   in Loop: Header=BB0_116 Depth=3
	v_cmp_lt_u16_e64 s[20:21], s56, v8
	v_cmp_gt_f16_e64 s[22:23], v9, v2
	s_and_b64 s[20:21], s[20:21], vcc
	s_nop 0
	v_cndmask_b32_e64 v2, v2, v9, s[22:23]
	v_cndmask_b32_e64 v9, v2, v62, s[20:21]
; %bb.148:                              ;   in Loop: Header=BB0_116 Depth=3
	s_or_b64 exec, exec, s[52:53]
	v_mov_b32_e32 v2, v9
.LBB0_149:                              ;   in Loop: Header=BB0_116 Depth=3
	s_or_b64 exec, exec, s[50:51]
                                        ; implicit-def: $vgpr9
                                        ; implicit-def: $vgpr8
.LBB0_150:                              ;   in Loop: Header=BB0_116 Depth=3
	s_andn2_saveexec_b64 s[22:23], s[48:49]
	s_cbranch_execz .LBB0_156
; %bb.151:                              ;   in Loop: Header=BB0_116 Depth=3
	s_and_saveexec_b64 s[48:49], s[46:47]
	s_cbranch_execz .LBB0_155
; %bb.152:                              ;   in Loop: Header=BB0_116 Depth=3
	s_or_b64 s[18:19], s[18:19], vcc
	s_and_saveexec_b64 s[46:47], s[18:19]
; %bb.153:                              ;   in Loop: Header=BB0_116 Depth=3
	v_cmp_lt_u16_e64 s[18:19], s56, v8
	v_cmp_gt_f16_e64 s[20:21], v9, v2
	s_and_b64 vcc, s[18:19], vcc
	s_nop 0
	v_cndmask_b32_e64 v2, v9, v2, s[20:21]
	v_cndmask_b32_e32 v9, v2, v62, vcc
; %bb.154:                              ;   in Loop: Header=BB0_116 Depth=3
	s_or_b64 exec, exec, s[46:47]
	v_mov_b32_e32 v2, v9
.LBB0_155:                              ;   in Loop: Header=BB0_116 Depth=3
	s_or_b64 exec, exec, s[48:49]
.LBB0_156:                              ;   in Loop: Header=BB0_116 Depth=3
	s_or_b64 exec, exec, s[22:23]
	v_alignbit_b32 v8, v47, v54, v5
	v_and_b32_e32 v5, 0x7fff, v4
	v_and_b32_e32 v9, 0x7fff, v8
	v_cmp_lt_u16_e32 vcc, s56, v5
	v_cmp_gt_u16_e64 s[18:19], s57, v9
	s_and_b64 s[20:21], s[18:19], vcc
	s_xor_b64 s[46:47], s[20:21], -1
                                        ; implicit-def: $vgpr5
	s_and_saveexec_b64 s[20:21], s[10:11]
	s_xor_b64 s[48:49], exec, s[20:21]
	s_cbranch_execz .LBB0_162
; %bb.157:                              ;   in Loop: Header=BB0_116 Depth=3
	v_mov_b32_e32 v5, v8
	s_and_saveexec_b64 s[50:51], s[46:47]
	s_cbranch_execz .LBB0_161
; %bb.158:                              ;   in Loop: Header=BB0_116 Depth=3
	s_or_b64 s[20:21], s[18:19], vcc
	v_mov_b32_e32 v5, v4
	s_and_saveexec_b64 s[52:53], s[20:21]
; %bb.159:                              ;   in Loop: Header=BB0_116 Depth=3
	v_cmp_lt_u16_e64 s[20:21], s56, v9
	v_cmp_gt_f16_e64 s[22:23], v4, v8
	s_and_b64 s[20:21], s[20:21], vcc
	s_nop 0
	v_cndmask_b32_e64 v5, v8, v4, s[22:23]
	v_cndmask_b32_e64 v5, v5, v62, s[20:21]
; %bb.160:                              ;   in Loop: Header=BB0_116 Depth=3
	s_or_b64 exec, exec, s[52:53]
.LBB0_161:                              ;   in Loop: Header=BB0_116 Depth=3
	s_or_b64 exec, exec, s[50:51]
                                        ; implicit-def: $vgpr9
.LBB0_162:                              ;   in Loop: Header=BB0_116 Depth=3
	s_andn2_saveexec_b64 s[22:23], s[48:49]
	s_cbranch_execz .LBB0_168
; %bb.163:                              ;   in Loop: Header=BB0_116 Depth=3
	v_mov_b32_e32 v5, v8
	s_and_saveexec_b64 s[48:49], s[46:47]
	s_cbranch_execz .LBB0_167
; %bb.164:                              ;   in Loop: Header=BB0_116 Depth=3
	s_or_b64 s[18:19], s[18:19], vcc
	v_mov_b32_e32 v5, v4
	s_and_saveexec_b64 s[46:47], s[18:19]
; %bb.165:                              ;   in Loop: Header=BB0_116 Depth=3
	v_cmp_lt_u16_e64 s[18:19], s56, v9
	v_cmp_gt_f16_e64 s[20:21], v4, v8
	s_and_b64 vcc, s[18:19], vcc
	s_nop 0
	v_cndmask_b32_e64 v5, v4, v8, s[20:21]
	v_cndmask_b32_e32 v5, v5, v62, vcc
; %bb.166:                              ;   in Loop: Header=BB0_116 Depth=3
	s_or_b64 exec, exec, s[46:47]
.LBB0_167:                              ;   in Loop: Header=BB0_116 Depth=3
	s_or_b64 exec, exec, s[48:49]
.LBB0_168:                              ;   in Loop: Header=BB0_116 Depth=3
	s_or_b64 exec, exec, s[22:23]
	v_lshrrev_b32_e32 v9, 16, v4
	v_lshrrev_b32_e32 v4, 16, v8
	v_and_b32_e32 v8, 0x7fff, v9
	v_cmp_lt_u16_e32 vcc, s56, v8
	v_and_b32_e32 v8, 0x7fff, v4
	v_cmp_gt_u16_e64 s[18:19], s57, v8
	s_and_b64 s[20:21], vcc, s[18:19]
	s_xor_b64 s[46:47], s[20:21], -1
	s_and_saveexec_b64 s[20:21], s[10:11]
	s_xor_b64 s[48:49], exec, s[20:21]
	s_cbranch_execz .LBB0_174
; %bb.169:                              ;   in Loop: Header=BB0_116 Depth=3
	s_and_saveexec_b64 s[50:51], s[46:47]
	s_cbranch_execz .LBB0_173
; %bb.170:                              ;   in Loop: Header=BB0_116 Depth=3
	s_or_b64 s[20:21], vcc, s[18:19]
	s_and_saveexec_b64 s[52:53], s[20:21]
; %bb.171:                              ;   in Loop: Header=BB0_116 Depth=3
	v_cmp_lt_u16_e64 s[20:21], s56, v8
	v_cmp_gt_f16_e64 s[22:23], v9, v4
	s_and_b64 s[20:21], vcc, s[20:21]
	s_nop 0
	v_cndmask_b32_e64 v4, v4, v9, s[22:23]
	v_cndmask_b32_e64 v9, v4, v62, s[20:21]
; %bb.172:                              ;   in Loop: Header=BB0_116 Depth=3
	s_or_b64 exec, exec, s[52:53]
	v_mov_b32_e32 v4, v9
.LBB0_173:                              ;   in Loop: Header=BB0_116 Depth=3
	s_or_b64 exec, exec, s[50:51]
                                        ; implicit-def: $vgpr9
                                        ; implicit-def: $vgpr8
.LBB0_174:                              ;   in Loop: Header=BB0_116 Depth=3
	s_andn2_saveexec_b64 s[22:23], s[48:49]
	s_cbranch_execz .LBB0_115
; %bb.175:                              ;   in Loop: Header=BB0_116 Depth=3
	s_and_saveexec_b64 s[48:49], s[46:47]
	s_cbranch_execz .LBB0_114
; %bb.176:                              ;   in Loop: Header=BB0_116 Depth=3
	s_or_b64 s[18:19], vcc, s[18:19]
	s_and_saveexec_b64 s[46:47], s[18:19]
	s_cbranch_execz .LBB0_113
; %bb.177:                              ;   in Loop: Header=BB0_116 Depth=3
	v_cmp_lt_u16_e64 s[18:19], s56, v8
	v_cmp_gt_f16_e64 s[20:21], v9, v4
	s_and_b64 vcc, vcc, s[18:19]
	s_nop 0
	v_cndmask_b32_e64 v4, v9, v4, s[20:21]
	v_cndmask_b32_e32 v9, v4, v62, vcc
	s_branch .LBB0_113
.LBB0_178:                              ;   in Loop: Header=BB0_70 Depth=2
	s_or_b64 exec, exec, s[44:45]
	v_accvgpr_read_b32 v6, a6
	v_accvgpr_read_b32 v7, a7
	s_or_b64 exec, exec, s[42:43]
	s_and_saveexec_b64 s[18:19], s[6:7]
	s_cbranch_execz .LBB0_74
.LBB0_179:                              ;   in Loop: Header=BB0_70 Depth=2
	s_and_saveexec_b64 s[20:21], s[36:37]
	s_xor_b64 s[20:21], exec, s[20:21]
	s_cbranch_execz .LBB0_194
; %bb.180:                              ;   in Loop: Header=BB0_70 Depth=2
	s_and_saveexec_b64 s[22:23], s[8:9]
	s_cbranch_execz .LBB0_193
; %bb.181:                              ;   in Loop: Header=BB0_70 Depth=2
	s_mov_b64 s[44:45], exec
	v_mbcnt_lo_u32_b32 v0, s44, 0
	v_mbcnt_hi_u32_b32 v0, s45, v0
	v_cmp_eq_u32_e32 vcc, 0, v0
	s_waitcnt lgkmcnt(0)
	s_and_saveexec_b64 s[42:43], vcc
	s_cbranch_execz .LBB0_183
; %bb.182:                              ;   in Loop: Header=BB0_70 Depth=2
	s_bcnt1_i32_b64 vcc_lo, s[44:45]
	v_mov_b32_e32 v54, vcc_lo
	ds_add_u64 v0, v[54:55]
	s_trap 2
.LBB0_183:                              ;   in Loop: Header=BB0_70 Depth=2
	s_or_b64 exec, exec, s[42:43]
	s_trap 2
	ds_read_b64 v[0:1], v0
	s_waitcnt vmcnt(0)
	v_accvgpr_read_b32 v2, a20
	v_accvgpr_read_b32 v3, a21
	v_lshl_add_u64 v[52:53], v[52:53], 0, v[2:3]
	s_waitcnt lgkmcnt(0)
	v_cmp_lt_u64_e32 vcc, v[0:1], v[52:53]
	s_and_saveexec_b64 s[42:43], vcc
	s_cbranch_execz .LBB0_192
; %bb.184:                              ;   in Loop: Header=BB0_70 Depth=2
	s_mov_b32 s59, 0
	s_mov_b64 s[44:45], 0
                                        ; implicit-def: $sgpr46_sgpr47
                                        ; implicit-def: $sgpr48_sgpr49
	s_branch .LBB0_186
.LBB0_185:                              ;   in Loop: Header=BB0_186 Depth=3
	s_or_b64 exec, exec, s[52:53]
	s_and_b64 vcc, exec, vcc
	s_or_b64 s[44:45], vcc, s[44:45]
	s_andn2_b64 vcc, s[46:47], exec
	s_and_b64 s[46:47], s[48:49], exec
	s_or_b64 s[46:47], vcc, s[46:47]
	s_andn2_b64 exec, exec, s[44:45]
	s_cbranch_execz .LBB0_190
.LBB0_186:                              ;   Parent Loop BB0_21 Depth=1
                                        ;     Parent Loop BB0_70 Depth=2
                                        ; =>    This Inner Loop Header: Depth=3
	s_add_i32 s59, s59, 1
	s_cmpk_lg_i32 s59, 0x2710
	s_cselect_b64 s[50:51], -1, 0
	s_and_b64 vcc, exec, s[50:51]
                                        ; implicit-def: $sgpr52_sgpr53
	s_cbranch_vccnz .LBB0_188
; %bb.187:                              ;   in Loop: Header=BB0_186 Depth=3
	s_trap 2
	ds_read_b64 v[0:1], v0
	s_andn2_b64 s[50:51], s[50:51], exec
	s_mov_b32 s59, 0
	s_mov_b64 s[52:53], -1
	s_waitcnt lgkmcnt(0)
	flat_load_dword v0, v[0:1] sc0 sc1
	s_waitcnt vmcnt(0) lgkmcnt(0)
	buffer_inv sc0 sc1
	v_cmp_eq_u32_e32 vcc, 0, v0
	s_and_b64 vcc, vcc, exec
	s_or_b64 s[50:51], s[50:51], vcc
.LBB0_188:                              ;   in Loop: Header=BB0_186 Depth=3
	s_andn2_b64 s[48:49], s[48:49], exec
	s_and_b64 s[52:53], s[52:53], exec
	s_mov_b64 vcc, -1
	s_or_b64 s[48:49], s[48:49], s[52:53]
	s_and_saveexec_b64 s[52:53], s[50:51]
	s_cbranch_execz .LBB0_185
; %bb.189:                              ;   in Loop: Header=BB0_186 Depth=3
	s_sleep 1
	s_trap 2
	ds_read_b64 v[0:1], v0
	s_andn2_b64 s[48:49], s[48:49], exec
	s_waitcnt lgkmcnt(0)
	v_cmp_ge_u64_e32 vcc, v[0:1], v[52:53]
	s_orn2_b64 vcc, vcc, exec
	s_branch .LBB0_185
.LBB0_190:                              ;   in Loop: Header=BB0_70 Depth=2
	s_or_b64 exec, exec, s[44:45]
	s_and_saveexec_b64 vcc, s[46:47]
	s_xor_b64 vcc, exec, vcc
	s_cbranch_execz .LBB0_192
; %bb.191:                              ;   in Loop: Header=BB0_70 Depth=2
	v_mov_b32_e32 v0, 1
	ds_write_b32 v0, v0
	s_trap 2
.LBB0_192:                              ;   in Loop: Header=BB0_70 Depth=2
	s_or_b64 exec, exec, s[42:43]
	;;#ASMSTART
	s_wakeup
	;;#ASMEND
.LBB0_193:                              ;   in Loop: Header=BB0_70 Depth=2
	s_or_b64 exec, exec, s[22:23]
.LBB0_194:                              ;   in Loop: Header=BB0_70 Depth=2
	s_andn2_saveexec_b64 s[20:21], s[20:21]
	s_cbranch_execz .LBB0_196
; %bb.195:                              ;   in Loop: Header=BB0_70 Depth=2
	s_waitcnt lgkmcnt(0)
	s_barrier
.LBB0_196:                              ;   in Loop: Header=BB0_70 Depth=2
	s_or_b64 exec, exec, s[20:21]
	s_or_b64 exec, exec, s[18:19]
	s_and_saveexec_b64 s[18:19], s[12:13]
	s_cbranch_execnz .LBB0_75
	s_branch .LBB0_76
.LBB0_197:                              ;   in Loop: Header=BB0_21 Depth=1
	v_mov_b64_e32 v[42:43], v[30:31]
	s_and_saveexec_b64 s[22:23], s[16:17]
	s_cbranch_execnz .LBB0_199
	s_branch .LBB0_276
.LBB0_198:                              ;   in Loop: Header=BB0_21 Depth=1
	s_waitcnt vmcnt(0) lgkmcnt(0)
	v_accvgpr_read_b32 v2, a42
	v_mov_b64_e32 v[42:43], v[30:31]
	v_accvgpr_read_b32 v3, a43
	s_and_saveexec_b64 s[22:23], s[16:17]
	s_cbranch_execz .LBB0_276
.LBB0_199:                              ;   in Loop: Header=BB0_21 Depth=1
	flat_load_dword v4, v[18:19]
	v_lshlrev_b64 v[0:1], 1, v[2:3]
	v_accvgpr_read_b32 v2, a8
	v_accvgpr_read_b32 v6, a26
	v_and_b32_e32 v5, 7, v28
	v_accvgpr_read_b32 v3, a9
	v_accvgpr_read_b32 v7, a27
	v_lshl_add_u64 v[2:3], v[2:3], 0, v[0:1]
	v_lshl_add_u64 v[20:21], v[6:7], 0, v[0:1]
	v_mul_lo_u32 v0, v5, s54
	v_accvgpr_read_b32 v6, a14
	v_ashrrev_i32_e32 v1, 31, v0
	v_accvgpr_read_b32 v7, a15
	v_lshl_add_u64 v[30:31], v[0:1], 4, v[6:7]
	v_add_u32_e32 v8, 1, v28
	s_mov_b64 s[42:43], 0
	s_waitcnt vmcnt(0) lgkmcnt(0)
	v_ashrrev_i32_e32 v5, 31, v4
	v_mul_lo_u32 v6, v41, v4
	v_mad_u64_u32 v[0:1], s[16:17], v40, v4, 0
	v_mul_lo_u32 v4, v40, v5
	v_add3_u32 v1, v1, v4, v6
	v_lshl_add_u64 v[0:1], v[0:1], 1, v[2:3]
	v_accvgpr_read_b32 v2, a22
	v_accvgpr_read_b32 v3, a23
	v_lshl_add_u64 v[46:47], v[2:3], 1, v[0:1]
	v_mov_b32_e32 v0, v24
	s_branch .LBB0_201
.LBB0_200:                              ;   in Loop: Header=BB0_201 Depth=2
	v_sub_u32_e32 v17, v17, v56
	v_cmp_gt_i32_e32 vcc, 1, v17
	v_lshl_add_u64 v[46:47], v[46:47], 0, v[60:61]
	v_lshl_add_u64 v[20:21], v[20:21], 0, v[60:61]
	s_or_b64 s[42:43], vcc, s[42:43]
	v_add_u32_e32 v0, v0, v16
	s_andn2_b64 exec, exec, s[42:43]
	s_cbranch_execz .LBB0_275
.LBB0_201:                              ;   Parent Loop BB0_21 Depth=1
                                        ; =>  This Loop Header: Depth=2
                                        ;       Child Loop BB0_209 Depth 3
	v_and_b32_e32 v2, -4, v46
	v_mov_b32_e32 v3, v47
	global_load_dword v9, v[2:3], off nt
	v_min_u32_e32 v1, 4, v17
	v_and_b32_e32 v6, 3, v46
	v_mov_b32_e32 v7, 0
	v_lshlrev_b32_e32 v54, 1, v1
	v_lshl_add_u64 v[4:5], v[6:7], 0, v[54:55]
	v_cmp_lt_u64_e32 vcc, 4, v[4:5]
	v_mov_b32_e32 v6, 0
	s_and_saveexec_b64 s[16:17], vcc
	s_cbranch_execz .LBB0_203
; %bb.202:                              ;   in Loop: Header=BB0_201 Depth=2
	global_load_dword v6, v[2:3], off offset:4 nt
.LBB0_203:                              ;   in Loop: Header=BB0_201 Depth=2
	s_or_b64 exec, exec, s[16:17]
	v_cmp_lt_u64_e32 vcc, 8, v[4:5]
	s_and_saveexec_b64 s[16:17], vcc
	s_cbranch_execz .LBB0_205
; %bb.204:                              ;   in Loop: Header=BB0_201 Depth=2
	global_load_dword v7, v[2:3], off offset:8 nt
.LBB0_205:                              ;   in Loop: Header=BB0_201 Depth=2
	s_or_b64 exec, exec, s[16:17]
	v_ashrrev_i32_e32 v1, 31, v0
	v_lshl_add_u64 v[50:51], v[0:1], 4, v[30:31]
	global_load_dwordx4 v[2:5], v[50:51], off nt
	v_cmp_eq_u32_e32 vcc, 0, v22
	s_and_saveexec_b64 s[18:19], vcc
	s_cbranch_execz .LBB0_217
; %bb.206:                              ;   in Loop: Header=BB0_201 Depth=2
	s_waitcnt vmcnt(0)
	v_cmp_ne_u32_e32 vcc, v8, v3
	v_cmp_ne_u32_e64 s[16:17], v8, v5
	s_or_b64 s[16:17], vcc, s[16:17]
	v_mov_b32_e32 v22, 0
	s_and_saveexec_b64 s[20:21], s[16:17]
	s_cbranch_execz .LBB0_216
; %bb.207:                              ;   in Loop: Header=BB0_201 Depth=2
	s_mov_b32 s48, 1
	s_mov_b64 s[44:45], 0
	v_mov_b32_e32 v22, 0
	s_branch .LBB0_209
.LBB0_208:                              ;   in Loop: Header=BB0_209 Depth=3
	s_or_b64 exec, exec, s[46:47]
	s_and_b64 s[16:17], exec, s[16:17]
	s_or_b64 s[44:45], s[16:17], s[44:45]
	s_andn2_b64 exec, exec, s[44:45]
	s_cbranch_execz .LBB0_215
.LBB0_209:                              ;   Parent Loop BB0_21 Depth=1
                                        ;     Parent Loop BB0_201 Depth=2
                                        ; =>    This Inner Loop Header: Depth=3
	global_load_dwordx4 v[2:5], v[50:51], off nt
	s_add_i32 s48, s48, 1
	s_cmpk_lg_i32 s48, 0x2710
	s_cbranch_scc1 .LBB0_213
; %bb.210:                              ;   in Loop: Header=BB0_209 Depth=3
	s_trap 2
	ds_read_b64 v[26:27], v0
	s_waitcnt vmcnt(0) lgkmcnt(0)
	flat_load_dword v1, v[26:27] sc0 sc1
	s_waitcnt vmcnt(0) lgkmcnt(0)
	buffer_inv sc0 sc1
	v_cmp_ne_u32_e32 vcc, 0, v1
	s_and_saveexec_b64 s[16:17], vcc
	s_cbranch_execz .LBB0_212
; %bb.211:                              ;   in Loop: Header=BB0_209 Depth=3
	v_mov_b32_e32 v22, 1
	ds_write_b32 v0, v1
	s_trap 2
.LBB0_212:                              ;   in Loop: Header=BB0_209 Depth=3
	s_or_b64 exec, exec, s[16:17]
	s_mov_b32 s48, 0
	v_mov_b32_e32 v1, v22
	v_cmp_eq_u32_e32 vcc, 0, v1
	s_mov_b64 s[16:17], -1
	s_and_saveexec_b64 s[46:47], vcc
	s_cbranch_execz .LBB0_208
	s_branch .LBB0_214
.LBB0_213:                              ;   in Loop: Header=BB0_209 Depth=3
	v_mov_b32_e32 v1, 0
	v_cmp_eq_u32_e32 vcc, 0, v1
	s_mov_b64 s[16:17], -1
	s_and_saveexec_b64 s[46:47], vcc
	s_cbranch_execz .LBB0_208
.LBB0_214:                              ;   in Loop: Header=BB0_209 Depth=3
	s_waitcnt vmcnt(0)
	v_cmp_eq_u32_e32 vcc, v8, v3
	v_cmp_eq_u32_e64 s[16:17], v8, v5
	s_and_b64 s[16:17], vcc, s[16:17]
	s_orn2_b64 s[16:17], s[16:17], exec
	s_branch .LBB0_208
.LBB0_215:                              ;   in Loop: Header=BB0_201 Depth=2
	s_or_b64 exec, exec, s[44:45]
.LBB0_216:                              ;   in Loop: Header=BB0_201 Depth=2
	s_or_b64 exec, exec, s[20:21]
.LBB0_217:                              ;   in Loop: Header=BB0_201 Depth=2
	s_or_b64 exec, exec, s[18:19]
	s_waitcnt vmcnt(0)
	v_lshlrev_b32_e32 v3, 3, v46
	v_alignbit_b32 v5, v6, v9, v3
	v_and_b32_e32 v1, 0x7fff, v2
	v_and_b32_e32 v9, 0x7fff, v5
	v_cmp_lt_u16_e32 vcc, s56, v1
	v_cmp_gt_u16_e64 s[16:17], s57, v9
	s_and_b64 s[18:19], s[16:17], vcc
	s_xor_b64 s[44:45], s[18:19], -1
                                        ; implicit-def: $vgpr1
	s_and_saveexec_b64 s[18:19], s[10:11]
	s_xor_b64 s[46:47], exec, s[18:19]
	s_cbranch_execz .LBB0_223
; %bb.218:                              ;   in Loop: Header=BB0_201 Depth=2
	v_mov_b32_e32 v1, v5
	s_and_saveexec_b64 s[48:49], s[44:45]
	s_cbranch_execz .LBB0_222
; %bb.219:                              ;   in Loop: Header=BB0_201 Depth=2
	s_or_b64 s[18:19], s[16:17], vcc
	v_mov_b32_e32 v1, v2
	s_and_saveexec_b64 s[50:51], s[18:19]
; %bb.220:                              ;   in Loop: Header=BB0_201 Depth=2
	v_cmp_lt_u16_e64 s[18:19], s56, v9
	v_cmp_gt_f16_e64 s[20:21], v2, v5
	s_and_b64 s[18:19], s[18:19], vcc
	s_nop 0
	v_cndmask_b32_e64 v1, v5, v2, s[20:21]
	v_cndmask_b32_e64 v1, v1, v62, s[18:19]
; %bb.221:                              ;   in Loop: Header=BB0_201 Depth=2
	s_or_b64 exec, exec, s[50:51]
.LBB0_222:                              ;   in Loop: Header=BB0_201 Depth=2
	s_or_b64 exec, exec, s[48:49]
                                        ; implicit-def: $vgpr9
.LBB0_223:                              ;   in Loop: Header=BB0_201 Depth=2
	s_andn2_saveexec_b64 s[20:21], s[46:47]
	s_cbranch_execz .LBB0_229
; %bb.224:                              ;   in Loop: Header=BB0_201 Depth=2
	v_mov_b32_e32 v1, v5
	s_and_saveexec_b64 s[46:47], s[44:45]
	s_cbranch_execz .LBB0_228
; %bb.225:                              ;   in Loop: Header=BB0_201 Depth=2
	s_or_b64 s[16:17], s[16:17], vcc
	v_mov_b32_e32 v1, v2
	s_and_saveexec_b64 s[44:45], s[16:17]
; %bb.226:                              ;   in Loop: Header=BB0_201 Depth=2
	v_cmp_lt_u16_e64 s[16:17], s56, v9
	v_cmp_gt_f16_e64 s[18:19], v2, v5
	s_and_b64 vcc, s[16:17], vcc
	s_nop 0
	v_cndmask_b32_e64 v1, v2, v5, s[18:19]
	v_cndmask_b32_e32 v1, v1, v62, vcc
; %bb.227:                              ;   in Loop: Header=BB0_201 Depth=2
	s_or_b64 exec, exec, s[44:45]
.LBB0_228:                              ;   in Loop: Header=BB0_201 Depth=2
	s_or_b64 exec, exec, s[46:47]
.LBB0_229:                              ;   in Loop: Header=BB0_201 Depth=2
	s_or_b64 exec, exec, s[20:21]
	v_lshrrev_b32_e32 v9, 16, v2
	v_lshrrev_b32_e32 v2, 16, v5
	v_and_b32_e32 v5, 0x7fff, v9
	v_cmp_lt_u16_e32 vcc, s56, v5
	v_and_b32_e32 v5, 0x7fff, v2
	v_cmp_gt_u16_e64 s[16:17], s57, v5
	s_and_b64 s[18:19], s[16:17], vcc
	s_xor_b64 s[44:45], s[18:19], -1
	s_and_saveexec_b64 s[18:19], s[10:11]
	s_xor_b64 s[46:47], exec, s[18:19]
	s_cbranch_execz .LBB0_235
; %bb.230:                              ;   in Loop: Header=BB0_201 Depth=2
	s_and_saveexec_b64 s[48:49], s[44:45]
	s_cbranch_execz .LBB0_234
; %bb.231:                              ;   in Loop: Header=BB0_201 Depth=2
	s_or_b64 s[18:19], s[16:17], vcc
	s_and_saveexec_b64 s[50:51], s[18:19]
; %bb.232:                              ;   in Loop: Header=BB0_201 Depth=2
	v_cmp_lt_u16_e64 s[18:19], s56, v5
	v_cmp_gt_f16_e64 s[20:21], v9, v2
	s_and_b64 s[18:19], s[18:19], vcc
	s_nop 0
	v_cndmask_b32_e64 v2, v2, v9, s[20:21]
	v_cndmask_b32_e64 v9, v2, v62, s[18:19]
; %bb.233:                              ;   in Loop: Header=BB0_201 Depth=2
	s_or_b64 exec, exec, s[50:51]
	v_mov_b32_e32 v2, v9
.LBB0_234:                              ;   in Loop: Header=BB0_201 Depth=2
	s_or_b64 exec, exec, s[48:49]
                                        ; implicit-def: $vgpr9
                                        ; implicit-def: $vgpr5
.LBB0_235:                              ;   in Loop: Header=BB0_201 Depth=2
	s_andn2_saveexec_b64 s[20:21], s[46:47]
	s_cbranch_execz .LBB0_241
; %bb.236:                              ;   in Loop: Header=BB0_201 Depth=2
	s_and_saveexec_b64 s[46:47], s[44:45]
	s_cbranch_execz .LBB0_240
; %bb.237:                              ;   in Loop: Header=BB0_201 Depth=2
	s_or_b64 s[16:17], s[16:17], vcc
	s_and_saveexec_b64 s[44:45], s[16:17]
; %bb.238:                              ;   in Loop: Header=BB0_201 Depth=2
	v_cmp_lt_u16_e64 s[16:17], s56, v5
	v_cmp_gt_f16_e64 s[18:19], v9, v2
	s_and_b64 vcc, s[16:17], vcc
	s_nop 0
	v_cndmask_b32_e64 v2, v9, v2, s[18:19]
	v_cndmask_b32_e32 v9, v2, v62, vcc
; %bb.239:                              ;   in Loop: Header=BB0_201 Depth=2
	s_or_b64 exec, exec, s[44:45]
	v_mov_b32_e32 v2, v9
.LBB0_240:                              ;   in Loop: Header=BB0_201 Depth=2
	s_or_b64 exec, exec, s[46:47]
.LBB0_241:                              ;   in Loop: Header=BB0_201 Depth=2
	s_or_b64 exec, exec, s[20:21]
	v_alignbit_b32 v5, v7, v6, v3
	v_and_b32_e32 v3, 0x7fff, v4
	v_and_b32_e32 v6, 0x7fff, v5
	v_cmp_lt_u16_e32 vcc, s56, v3
	v_cmp_gt_u16_e64 s[16:17], s57, v6
	s_and_b64 s[18:19], s[16:17], vcc
	s_xor_b64 s[44:45], s[18:19], -1
                                        ; implicit-def: $vgpr3
	s_and_saveexec_b64 s[18:19], s[10:11]
	s_xor_b64 s[46:47], exec, s[18:19]
	s_cbranch_execz .LBB0_247
; %bb.242:                              ;   in Loop: Header=BB0_201 Depth=2
	v_mov_b32_e32 v3, v5
	s_and_saveexec_b64 s[48:49], s[44:45]
	s_cbranch_execz .LBB0_246
; %bb.243:                              ;   in Loop: Header=BB0_201 Depth=2
	s_or_b64 s[18:19], s[16:17], vcc
	v_mov_b32_e32 v3, v4
	s_and_saveexec_b64 s[50:51], s[18:19]
; %bb.244:                              ;   in Loop: Header=BB0_201 Depth=2
	v_cmp_lt_u16_e64 s[18:19], s56, v6
	v_cmp_gt_f16_e64 s[20:21], v4, v5
	s_and_b64 s[18:19], s[18:19], vcc
	s_nop 0
	v_cndmask_b32_e64 v3, v5, v4, s[20:21]
	v_cndmask_b32_e64 v3, v3, v62, s[18:19]
; %bb.245:                              ;   in Loop: Header=BB0_201 Depth=2
	s_or_b64 exec, exec, s[50:51]
.LBB0_246:                              ;   in Loop: Header=BB0_201 Depth=2
	s_or_b64 exec, exec, s[48:49]
                                        ; implicit-def: $vgpr6
.LBB0_247:                              ;   in Loop: Header=BB0_201 Depth=2
	s_andn2_saveexec_b64 s[20:21], s[46:47]
	s_cbranch_execz .LBB0_253
; %bb.248:                              ;   in Loop: Header=BB0_201 Depth=2
	v_mov_b32_e32 v3, v5
	s_and_saveexec_b64 s[46:47], s[44:45]
	s_cbranch_execz .LBB0_252
; %bb.249:                              ;   in Loop: Header=BB0_201 Depth=2
	s_or_b64 s[16:17], s[16:17], vcc
	v_mov_b32_e32 v3, v4
	s_and_saveexec_b64 s[44:45], s[16:17]
; %bb.250:                              ;   in Loop: Header=BB0_201 Depth=2
	v_cmp_lt_u16_e64 s[16:17], s56, v6
	v_cmp_gt_f16_e64 s[18:19], v4, v5
	s_and_b64 vcc, s[16:17], vcc
	s_nop 0
	v_cndmask_b32_e64 v3, v4, v5, s[18:19]
	v_cndmask_b32_e32 v3, v3, v62, vcc
; %bb.251:                              ;   in Loop: Header=BB0_201 Depth=2
	s_or_b64 exec, exec, s[44:45]
.LBB0_252:                              ;   in Loop: Header=BB0_201 Depth=2
	s_or_b64 exec, exec, s[46:47]
.LBB0_253:                              ;   in Loop: Header=BB0_201 Depth=2
	s_or_b64 exec, exec, s[20:21]
	v_lshrrev_b32_e32 v6, 16, v4
	v_lshrrev_b32_e32 v4, 16, v5
	v_and_b32_e32 v5, 0x7fff, v6
	v_cmp_lt_u16_e32 vcc, s56, v5
	v_and_b32_e32 v5, 0x7fff, v4
	v_cmp_gt_u16_e64 s[16:17], s57, v5
	s_and_b64 s[18:19], vcc, s[16:17]
	s_xor_b64 s[44:45], s[18:19], -1
	s_and_saveexec_b64 s[18:19], s[10:11]
	s_xor_b64 s[46:47], exec, s[18:19]
	s_cbranch_execz .LBB0_259
; %bb.254:                              ;   in Loop: Header=BB0_201 Depth=2
	s_and_saveexec_b64 s[48:49], s[44:45]
	s_cbranch_execz .LBB0_258
; %bb.255:                              ;   in Loop: Header=BB0_201 Depth=2
	s_or_b64 s[18:19], vcc, s[16:17]
	s_and_saveexec_b64 s[50:51], s[18:19]
; %bb.256:                              ;   in Loop: Header=BB0_201 Depth=2
	v_cmp_lt_u16_e64 s[18:19], s56, v5
	v_cmp_gt_f16_e64 s[20:21], v6, v4
	s_and_b64 s[18:19], vcc, s[18:19]
	s_nop 0
	v_cndmask_b32_e64 v4, v4, v6, s[20:21]
	v_cndmask_b32_e64 v6, v4, v62, s[18:19]
; %bb.257:                              ;   in Loop: Header=BB0_201 Depth=2
	s_or_b64 exec, exec, s[50:51]
	v_mov_b32_e32 v4, v6
.LBB0_258:                              ;   in Loop: Header=BB0_201 Depth=2
	s_or_b64 exec, exec, s[48:49]
                                        ; implicit-def: $vgpr6
                                        ; implicit-def: $vgpr5
.LBB0_259:                              ;   in Loop: Header=BB0_201 Depth=2
	s_andn2_saveexec_b64 s[20:21], s[46:47]
	s_cbranch_execz .LBB0_265
; %bb.260:                              ;   in Loop: Header=BB0_201 Depth=2
	s_and_saveexec_b64 s[46:47], s[44:45]
	s_cbranch_execz .LBB0_264
; %bb.261:                              ;   in Loop: Header=BB0_201 Depth=2
	s_or_b64 s[16:17], vcc, s[16:17]
	s_and_saveexec_b64 s[44:45], s[16:17]
; %bb.262:                              ;   in Loop: Header=BB0_201 Depth=2
	v_cmp_lt_u16_e64 s[16:17], s56, v5
	v_cmp_gt_f16_e64 s[18:19], v6, v4
	s_and_b64 vcc, vcc, s[16:17]
	s_nop 0
	v_cndmask_b32_e64 v4, v6, v4, s[18:19]
	v_cndmask_b32_e32 v6, v4, v62, vcc
; %bb.263:                              ;   in Loop: Header=BB0_201 Depth=2
	s_or_b64 exec, exec, s[44:45]
	v_mov_b32_e32 v4, v6
.LBB0_264:                              ;   in Loop: Header=BB0_201 Depth=2
	s_or_b64 exec, exec, s[46:47]
.LBB0_265:                              ;   in Loop: Header=BB0_201 Depth=2
	s_or_b64 exec, exec, s[20:21]
	v_cmp_lt_u32_e32 vcc, 3, v17
	s_and_b64 s[16:17], s[14:15], vcc
	v_cndmask_b32_e64 v5, 0, 1, s[16:17]
	;;#ASMSTART
	;;#ASMEND
	s_nop 0
	v_cmp_ne_u32_e64 s[16:17], 0, v5
	s_cmp_lg_u64 s[16:17], exec
	s_mov_b64 s[16:17], -1
	s_cbranch_scc0 .LBB0_271
; %bb.266:                              ;   in Loop: Header=BB0_201 Depth=2
	v_cmp_ne_u32_e64 s[16:17], 1, v17
	flat_store_short v[20:21], v1
	s_and_saveexec_b64 s[18:19], s[16:17]
	s_cbranch_execnz .LBB0_273
; %bb.267:                              ;   in Loop: Header=BB0_201 Depth=2
	s_or_b64 exec, exec, s[18:19]
	v_cmp_lt_u32_e64 s[16:17], 2, v17
	s_and_saveexec_b64 s[18:19], s[16:17]
	s_cbranch_execnz .LBB0_274
.LBB0_268:                              ;   in Loop: Header=BB0_201 Depth=2
	s_or_b64 exec, exec, s[18:19]
	s_and_saveexec_b64 s[16:17], vcc
	s_cbranch_execz .LBB0_270
.LBB0_269:                              ;   in Loop: Header=BB0_201 Depth=2
	flat_store_short v[20:21], v4 offset:6
.LBB0_270:                              ;   in Loop: Header=BB0_201 Depth=2
	s_or_b64 exec, exec, s[16:17]
	s_mov_b64 s[16:17], 0
.LBB0_271:                              ;   in Loop: Header=BB0_201 Depth=2
	s_and_b64 vcc, exec, s[16:17]
	s_cbranch_vccz .LBB0_200
; %bb.272:                              ;   in Loop: Header=BB0_201 Depth=2
	v_lshlrev_b32_e32 v2, 16, v2
	v_and_b32_e32 v1, 0xffff, v1
	v_or_b32_e32 v1, v2, v1
	v_lshlrev_b32_e32 v2, 16, v4
	v_and_b32_e32 v3, 0xffff, v3
	v_or3_b32 v3, v2, v3, 0
	v_or3_b32 v2, 0, 0, v1
	global_store_dwordx2 v[20:21], v[2:3], off
	s_branch .LBB0_200
.LBB0_273:                              ;   in Loop: Header=BB0_201 Depth=2
	flat_store_short v[20:21], v2 offset:2
	s_or_b64 exec, exec, s[18:19]
	v_cmp_lt_u32_e64 s[16:17], 2, v17
	s_and_saveexec_b64 s[18:19], s[16:17]
	s_cbranch_execz .LBB0_268
.LBB0_274:                              ;   in Loop: Header=BB0_201 Depth=2
	flat_store_short v[20:21], v3 offset:4
	s_or_b64 exec, exec, s[18:19]
	s_and_saveexec_b64 s[16:17], vcc
	s_cbranch_execnz .LBB0_269
	s_branch .LBB0_270
.LBB0_275:                              ;   in Loop: Header=BB0_21 Depth=1
	s_or_b64 exec, exec, s[42:43]
	v_accvgpr_read_b32 v6, a6
	v_accvgpr_read_b32 v7, a7
.LBB0_276:                              ;   in Loop: Header=BB0_21 Depth=1
	s_or_b64 exec, exec, s[22:23]
	s_and_saveexec_b64 s[16:17], s[6:7]
	s_cbranch_execnz .LBB0_278
; %bb.277:                              ;   in Loop: Header=BB0_21 Depth=1
	s_or_b64 exec, exec, s[16:17]
	s_and_saveexec_b64 s[16:17], s[12:13]
	s_cbranch_execz .LBB0_20
	s_branch .LBB0_296
.LBB0_278:                              ;   in Loop: Header=BB0_21 Depth=1
	s_and_saveexec_b64 s[18:19], s[36:37]
	s_xor_b64 s[18:19], exec, s[18:19]
	s_cbranch_execz .LBB0_293
; %bb.279:                              ;   in Loop: Header=BB0_21 Depth=1
	s_and_saveexec_b64 s[20:21], s[8:9]
	s_cbranch_execz .LBB0_292
; %bb.280:                              ;   in Loop: Header=BB0_21 Depth=1
	s_mov_b64 s[42:43], exec
	v_mbcnt_lo_u32_b32 v0, s42, 0
	v_mbcnt_hi_u32_b32 v0, s43, v0
	v_cmp_eq_u32_e32 vcc, 0, v0
	s_waitcnt lgkmcnt(0)
	s_and_saveexec_b64 s[22:23], vcc
	s_cbranch_execz .LBB0_282
; %bb.281:                              ;   in Loop: Header=BB0_21 Depth=1
	s_bcnt1_i32_b64 vcc_lo, s[42:43]
	v_mov_b32_e32 v54, vcc_lo
	ds_add_u64 v0, v[54:55]
	s_trap 2
.LBB0_282:                              ;   in Loop: Header=BB0_21 Depth=1
	s_or_b64 exec, exec, s[22:23]
	s_trap 2
	ds_read_b64 v[0:1], v0
	v_accvgpr_read_b32 v2, a20
	v_accvgpr_read_b32 v3, a21
	v_lshl_add_u64 v[52:53], v[52:53], 0, v[2:3]
	s_waitcnt lgkmcnt(0)
	v_cmp_lt_u64_e32 vcc, v[0:1], v[52:53]
	s_and_saveexec_b64 s[22:23], vcc
	s_cbranch_execz .LBB0_291
; %bb.283:                              ;   in Loop: Header=BB0_21 Depth=1
	s_mov_b32 s52, 0
	s_mov_b64 s[42:43], 0
                                        ; implicit-def: $sgpr44_sgpr45
                                        ; implicit-def: $sgpr46_sgpr47
	s_branch .LBB0_285
.LBB0_284:                              ;   in Loop: Header=BB0_285 Depth=2
	s_or_b64 exec, exec, s[50:51]
	s_and_b64 vcc, exec, vcc
	s_or_b64 s[42:43], vcc, s[42:43]
	s_andn2_b64 vcc, s[44:45], exec
	s_and_b64 s[44:45], s[46:47], exec
	s_or_b64 s[44:45], vcc, s[44:45]
	s_andn2_b64 exec, exec, s[42:43]
	s_cbranch_execz .LBB0_289
.LBB0_285:                              ;   Parent Loop BB0_21 Depth=1
                                        ; =>  This Inner Loop Header: Depth=2
	s_add_i32 s52, s52, 1
	s_cmpk_lg_i32 s52, 0x2710
	s_cselect_b64 s[48:49], -1, 0
	s_and_b64 vcc, exec, s[48:49]
                                        ; implicit-def: $sgpr50_sgpr51
	s_cbranch_vccnz .LBB0_287
; %bb.286:                              ;   in Loop: Header=BB0_285 Depth=2
	s_trap 2
	ds_read_b64 v[0:1], v0
	s_andn2_b64 s[48:49], s[48:49], exec
	s_mov_b32 s52, 0
	s_mov_b64 s[50:51], -1
	s_waitcnt vmcnt(0) lgkmcnt(0)
	flat_load_dword v0, v[0:1] sc0 sc1
	s_waitcnt vmcnt(0) lgkmcnt(0)
	buffer_inv sc0 sc1
	v_cmp_eq_u32_e32 vcc, 0, v0
	s_and_b64 vcc, vcc, exec
	s_or_b64 s[48:49], s[48:49], vcc
.LBB0_287:                              ;   in Loop: Header=BB0_285 Depth=2
	s_andn2_b64 s[46:47], s[46:47], exec
	s_and_b64 s[50:51], s[50:51], exec
	s_mov_b64 vcc, -1
	s_or_b64 s[46:47], s[46:47], s[50:51]
	s_and_saveexec_b64 s[50:51], s[48:49]
	s_cbranch_execz .LBB0_284
; %bb.288:                              ;   in Loop: Header=BB0_285 Depth=2
	s_sleep 1
	s_trap 2
	ds_read_b64 v[0:1], v0
	s_andn2_b64 s[46:47], s[46:47], exec
	s_waitcnt lgkmcnt(0)
	v_cmp_ge_u64_e32 vcc, v[0:1], v[52:53]
	s_orn2_b64 vcc, vcc, exec
	s_branch .LBB0_284
.LBB0_289:                              ;   in Loop: Header=BB0_21 Depth=1
	s_or_b64 exec, exec, s[42:43]
	s_and_saveexec_b64 vcc, s[44:45]
	s_xor_b64 vcc, exec, vcc
	s_cbranch_execz .LBB0_291
; %bb.290:                              ;   in Loop: Header=BB0_21 Depth=1
	v_mov_b32_e32 v0, 1
	ds_write_b32 v0, v0
	s_trap 2
.LBB0_291:                              ;   in Loop: Header=BB0_21 Depth=1
	s_or_b64 exec, exec, s[22:23]
	;;#ASMSTART
	s_wakeup
	;;#ASMEND
.LBB0_292:                              ;   in Loop: Header=BB0_21 Depth=1
	s_or_b64 exec, exec, s[20:21]
.LBB0_293:                              ;   in Loop: Header=BB0_21 Depth=1
	s_andn2_saveexec_b64 s[18:19], s[18:19]
	s_cbranch_execz .LBB0_295
; %bb.294:                              ;   in Loop: Header=BB0_21 Depth=1
	s_waitcnt lgkmcnt(0)
	s_barrier
.LBB0_295:                              ;   in Loop: Header=BB0_21 Depth=1
	s_or_b64 exec, exec, s[18:19]
	s_or_b64 exec, exec, s[16:17]
	s_and_saveexec_b64 s[16:17], s[12:13]
	s_cbranch_execz .LBB0_20
.LBB0_296:                              ;   in Loop: Header=BB0_21 Depth=1
	v_accvgpr_read_b32 v0, a16
	v_lshl_add_u64 v[34:35], v[34:35], 0, 1
	v_accvgpr_read_b32 v1, a17
	flat_store_dwordx2 v[0:1], v[34:35] sc0 sc1
	s_branch .LBB0_20
.LBB0_297:
	s_or_b64 exec, exec, s[34:35]
	v_accvgpr_read_b32 v27, a11
	v_accvgpr_read_b32 v39, a13
	v_accvgpr_read_b32 v31, a0
	v_accvgpr_read_b32 v17, a1
	v_accvgpr_read_b32 v26, a10
	v_accvgpr_read_b32 v38, a12
.LBB0_298:
	s_or_b64 exec, exec, s[28:29]
; %bb.299:
	s_and_saveexec_b64 s[2:3], s[26:27]
	s_cbranch_execnz .LBB0_302
; %bb.300:
	s_or_b64 exec, exec, s[2:3]
	s_and_saveexec_b64 s[2:3], s[0:1]
	s_cbranch_execnz .LBB0_303
.LBB0_301:
	s_or_b64 exec, exec, s[2:3]
	v_cmp_ne_u32_e32 vcc, 64, v16
	s_and_saveexec_b64 s[0:1], vcc
	s_cbranch_execnz .LBB0_304
	s_branch .LBB0_321
.LBB0_302:
	s_waitcnt vmcnt(0) lgkmcnt(0)
	flat_store_dwordx2 v[38:39], v[34:35] offset:104
	s_or_b64 exec, exec, s[2:3]
	s_and_saveexec_b64 s[2:3], s[0:1]
	s_cbranch_execz .LBB0_301
.LBB0_303:
	s_waitcnt vmcnt(0) lgkmcnt(0)
	flat_store_dwordx2 v[26:27], v[14:15] offset:104
	s_or_b64 exec, exec, s[2:3]
	v_cmp_ne_u32_e32 vcc, 64, v16
	s_and_saveexec_b64 s[0:1], vcc
	s_cbranch_execz .LBB0_321
.LBB0_304:
	v_cmp_ne_u32_sdwa s[2:3], v17, v16 src0_sel:WORD_0 src1_sel:DWORD
	s_and_saveexec_b64 s[4:5], s[2:3]
	s_xor_b64 s[2:3], exec, s[4:5]
	s_cbranch_execz .LBB0_319
; %bb.305:
	v_and_b32_e32 v0, 63, v31
	v_cmp_eq_u32_e32 vcc, 0, v0
	s_and_saveexec_b64 s[4:5], vcc
	s_cbranch_execz .LBB0_318
; %bb.306:
	s_mov_b64 s[8:9], exec
	v_mbcnt_lo_u32_b32 v0, s8, 0
	v_mbcnt_hi_u32_b32 v0, s9, v0
	v_cmp_eq_u32_e32 vcc, 0, v0
	s_waitcnt lgkmcnt(0)
	s_and_saveexec_b64 s[6:7], vcc
	s_cbranch_execz .LBB0_308
; %bb.307:
	s_bcnt1_i32_b64 s8, s[8:9]
	v_mov_b32_e32 v0, s8
	v_mov_b32_e32 v1, 0
	ds_add_u64 v0, v[0:1]
	s_trap 2
.LBB0_308:
	s_or_b64 exec, exec, s[6:7]
	v_ashrrev_i32_e32 v0, 31, v16
	v_lshrrev_b32_e32 v0, 26, v0
	s_trap 2
	ds_read_b64 v[2:3], v0
	v_add_u32_e32 v0, v16, v0
	v_ashrrev_i32_e32 v0, 6, v0
	v_ashrrev_i32_e32 v1, 31, v0
	v_lshl_add_u64 v[0:1], v[52:53], 0, v[0:1]
	s_waitcnt lgkmcnt(0)
	v_cmp_lt_u64_e32 vcc, v[2:3], v[0:1]
	s_and_saveexec_b64 s[6:7], vcc
	s_cbranch_execz .LBB0_317
; %bb.309:
	s_mov_b32 s20, 0
	s_mov_b64 s[8:9], 0
                                        ; implicit-def: $sgpr10_sgpr11
                                        ; implicit-def: $sgpr12_sgpr13
	s_branch .LBB0_311
.LBB0_310:                              ;   in Loop: Header=BB0_311 Depth=1
	s_or_b64 exec, exec, s[18:19]
	s_and_b64 s[14:15], exec, s[16:17]
	s_or_b64 s[8:9], s[14:15], s[8:9]
	s_andn2_b64 s[10:11], s[10:11], exec
	s_and_b64 s[14:15], s[12:13], exec
	s_or_b64 s[10:11], s[10:11], s[14:15]
	s_andn2_b64 exec, exec, s[8:9]
	s_cbranch_execz .LBB0_315
.LBB0_311:                              ; =>This Inner Loop Header: Depth=1
	s_add_i32 s20, s20, 1
	s_cmpk_lg_i32 s20, 0x2710
	s_cselect_b64 s[14:15], -1, 0
	s_and_b64 vcc, exec, s[14:15]
                                        ; implicit-def: $sgpr18_sgpr19
	s_cbranch_vccnz .LBB0_313
; %bb.312:                              ;   in Loop: Header=BB0_311 Depth=1
	s_trap 2
	ds_read_b64 v[2:3], v0
	s_andn2_b64 s[14:15], s[14:15], exec
	s_mov_b32 s20, 0
	s_mov_b64 s[18:19], -1
	s_waitcnt vmcnt(0) lgkmcnt(0)
	flat_load_dword v2, v[2:3] sc0 sc1
	s_waitcnt vmcnt(0) lgkmcnt(0)
	buffer_inv sc0 sc1
	v_cmp_eq_u32_e32 vcc, 0, v2
	s_and_b64 s[16:17], vcc, exec
	s_or_b64 s[14:15], s[14:15], s[16:17]
.LBB0_313:                              ;   in Loop: Header=BB0_311 Depth=1
	s_andn2_b64 s[12:13], s[12:13], exec
	s_and_b64 s[18:19], s[18:19], exec
	s_mov_b64 s[16:17], -1
	s_or_b64 s[12:13], s[12:13], s[18:19]
	s_and_saveexec_b64 s[18:19], s[14:15]
	s_cbranch_execz .LBB0_310
; %bb.314:                              ;   in Loop: Header=BB0_311 Depth=1
	s_sleep 1
	s_trap 2
	ds_read_b64 v[2:3], v0
	s_andn2_b64 s[12:13], s[12:13], exec
	s_waitcnt lgkmcnt(0)
	v_cmp_ge_u64_e32 vcc, v[2:3], v[0:1]
	s_orn2_b64 s[16:17], vcc, exec
	s_branch .LBB0_310
.LBB0_315:
	s_or_b64 exec, exec, s[8:9]
	s_and_saveexec_b64 s[8:9], s[10:11]
	s_xor_b64 s[8:9], exec, s[8:9]
	s_cbranch_execz .LBB0_317
; %bb.316:
	v_mov_b32_e32 v0, 1
	ds_write_b32 v0, v0
	s_trap 2
.LBB0_317:
	s_or_b64 exec, exec, s[6:7]
	;;#ASMSTART
	s_wakeup
	;;#ASMEND
.LBB0_318:
	s_or_b64 exec, exec, s[4:5]
.LBB0_319:
	s_andn2_saveexec_b64 s[2:3], s[2:3]
	s_cbranch_execz .LBB0_321
; %bb.320:
	s_waitcnt lgkmcnt(0)
	s_barrier
.LBB0_321:
	s_or_b64 exec, exec, s[0:1]
	scratch_load_dword a43, off, s32        ; 4-byte Folded Reload
	scratch_load_dword a42, off, s32 offset:4 ; 4-byte Folded Reload
	scratch_load_dword a40, off, s32 offset:8 ; 4-byte Folded Reload
	;; [unrolled: 1-line block ×21, first 2 shown]
	s_waitcnt lgkmcnt(0)
	scratch_load_dword v43, off, s32 offset:88 ; 4-byte Folded Reload
	scratch_load_dword v42, off, s32 offset:92 ; 4-byte Folded Reload
	;; [unrolled: 1-line block ×4, first 2 shown]
	v_readlane_b32 s30, v63, 26
	v_readlane_b32 s31, v63, 27
	;; [unrolled: 1-line block ×28, first 2 shown]
	s_or_saveexec_b64 s[0:1], -1
	scratch_load_dword v63, off, s32 offset:104 ; 4-byte Folded Reload
	s_mov_b64 exec, s[0:1]
	s_waitcnt vmcnt(0)
	s_setpc_b64 s[30:31]
.Lfunc_end0:
	.size	_ZN12_GLOBAL__N_17runRingI6__half10FuncMinMaxIS1_E7ProtoLLLi0ELi1ELi0EEEviiP15ncclDevWorkColl, .Lfunc_end0-_ZN12_GLOBAL__N_17runRingI6__half10FuncMinMaxIS1_E7ProtoLLLi0ELi1ELi0EEEviiP15ncclDevWorkColl
                                        ; -- End function
	.section	.AMDGPU.csdata,"",@progbits
; Function info:
; codeLenInByte = 9836
; NumSgprs: 66
; NumVgprs: 64
; NumAgprs: 44
; TotalNumVgprs: 108
; ScratchSize: 112
; MemoryBound: 0
	.text
	.p2align	2                               ; -- Begin function _Z50ncclDevFunc_ReduceScatter_RING_LL_MinMax_f16_0_0_1v
	.type	_Z50ncclDevFunc_ReduceScatter_RING_LL_MinMax_f16_0_0_1v,@function
_Z50ncclDevFunc_ReduceScatter_RING_LL_MinMax_f16_0_0_1v: ; @_Z50ncclDevFunc_ReduceScatter_RING_LL_MinMax_f16_0_0_1v
; %bb.0:
	s_waitcnt vmcnt(0) expcnt(0) lgkmcnt(0)
	s_mov_b32 s0, s33
	s_mov_b32 s33, s32
	s_or_saveexec_b64 s[2:3], -1
	scratch_store_dword off, v43, s33 offset:16 ; 4-byte Folded Spill
	s_mov_b64 exec, s[2:3]
	v_writelane_b32 v43, s0, 36
	s_add_i32 s32, s32, 32
	scratch_store_dword off, v40, s33 offset:12 ; 4-byte Folded Spill
	scratch_store_dword off, v41, s33 offset:8 ; 4-byte Folded Spill
	;; [unrolled: 1-line block ×3, first 2 shown]
	scratch_store_dword off, v63, s33       ; 4-byte Folded Spill
	v_writelane_b32 v43, s34, 0
	v_writelane_b32 v43, s35, 1
	;; [unrolled: 1-line block ×35, first 2 shown]
	s_nop 1
	v_writelane_b32 v43, s31, 35
	s_trap 2
	ds_read_b32 v0, v0
	v_mov_b32_e32 v40, v31
	v_and_b32_e32 v41, 0x3ff, v40
	s_mov_b32 s62, s12
	s_mov_b64 s[60:61], s[8:9]
	s_waitcnt lgkmcnt(0)
	v_cmp_lt_i32_e32 vcc, v41, v0
	s_and_saveexec_b64 s[0:1], vcc
	s_cbranch_execz .LBB1_5
; %bb.1:
	s_load_dword s2, s[60:61], 0x0
	v_mov_b32_e32 v1, 0
	s_mov_b32 s6, 0
	v_mov_b32_e32 v4, v41
                                        ; implicit-def: $vgpr2
	s_waitcnt lgkmcnt(0)
	s_cmp_lt_u32 s62, s2
	s_cselect_b32 s2, 12, 18
	s_add_u32 s2, s60, s2
	s_addc_u32 s3, s61, 0
	global_load_ushort v1, v1, s[2:3]
	s_trap 2
	ds_read_b32 v3, v0
	s_mov_b64 s[2:3], 0
	s_waitcnt vmcnt(0) lgkmcnt(0)
	v_mul_lo_u32 v3, v3, v1
	s_branch .LBB1_3
.LBB1_2:                                ;   in Loop: Header=BB1_3 Depth=1
	s_or_b64 exec, exec, s[4:5]
	v_add_u32_e32 v4, v4, v1
	v_cmp_ge_i32_e32 vcc, v4, v0
	s_or_b64 s[2:3], vcc, s[2:3]
	v_add_u32_e32 v2, v2, v3
	s_andn2_b64 exec, exec, s[2:3]
	s_cbranch_execz .LBB1_5
.LBB1_3:                                ; =>This Inner Loop Header: Depth=1
	ds_read_b32 v5, v2
	s_waitcnt lgkmcnt(0)
	v_and_b32_e32 v5, 0x1000000, v5
	v_cmp_ne_u32_e32 vcc, 0, v5
	s_and_saveexec_b64 s[4:5], vcc
	s_cbranch_execz .LBB1_2
; %bb.4:                                ;   in Loop: Header=BB1_3 Depth=1
	ds_read_b64 v[6:7], v2 offset:104
	s_waitcnt lgkmcnt(0)
	flat_load_ushort v5, v[6:7]
	v_mov_b32_e32 v7, s6
	s_waitcnt vmcnt(0) lgkmcnt(0)
	v_and_b32_e32 v6, 0xffff, v5
	ds_write_b64 v2, v[6:7] offset:104
	s_branch .LBB1_2
.LBB1_5:
	s_or_b64 exec, exec, s[0:1]
	s_waitcnt lgkmcnt(0)
	s_barrier
	s_trap 2
	ds_read_b32 v0, v0
	s_waitcnt lgkmcnt(0)
	v_cmp_gt_i32_e32 vcc, 1, v0
	s_cbranch_vccnz .LBB1_13
; %bb.6:
	s_mov_b32 s63, 0
	s_mov_b64 s[64:65], src_shared_base
	v_mov_b32_e32 v42, 6
	s_branch .LBB1_8
.LBB1_7:                                ;   in Loop: Header=BB1_8 Depth=1
	s_or_b64 exec, exec, s[66:67]
	s_trap 2
	ds_read_b32 v0, v0
	s_add_i32 s63, s63, 1
	s_waitcnt lgkmcnt(0)
	v_cmp_lt_i32_e32 vcc, s63, v0
	s_cbranch_vccz .LBB1_13
.LBB1_8:                                ; =>This Inner Loop Header: Depth=1
	s_trap 2
	ds_read_b32 v0, v0
	s_cmp_eq_u32 s63, 0
	s_cbranch_scc1 .LBB1_11
; %bb.9:                                ;   in Loop: Header=BB1_8 Depth=1
	s_trap 2
	s_waitcnt lgkmcnt(0)
	ds_read_b32 v1, v0
	s_waitcnt lgkmcnt(0)
	v_xor_b32_e32 v1, v1, v0
	v_and_b32_e32 v1, 0xff0000, v1
	v_cmp_eq_u32_e32 vcc, 0, v1
	s_cbranch_vccnz .LBB1_11
; %bb.10:                               ;   in Loop: Header=BB1_8 Depth=1
	s_barrier
	ds_read_b32 v0, v0
.LBB1_11:                               ;   in Loop: Header=BB1_8 Depth=1
	s_waitcnt lgkmcnt(0)
	v_lshlrev_b32_sdwa v1, v42, v0 dst_sel:DWORD dst_unused:UNUSED_PAD src0_sel:DWORD src1_sel:BYTE_2
	v_cmp_lt_u32_e32 vcc, v41, v1
	s_and_saveexec_b64 s[66:67], vcc
	s_cbranch_execz .LBB1_7
; %bb.12:                               ;   in Loop: Header=BB1_8 Depth=1
	s_mov_b64 s[8:9], s[60:61]
	s_mov_b32 s12, s62
	v_mov_b32_e32 v31, v40
	v_mov_b32_e32 v0, v41
	v_mov_b32_e32 v3, s65
	s_getpc_b64 s[0:1]
	s_add_u32 s0, s0, _ZN12_GLOBAL__N_17runRingI6__half10FuncMinMaxIS1_E7ProtoLLLi0ELi1ELi0EEEviiP15ncclDevWorkColl@rel32@lo+4
	s_addc_u32 s1, s1, _ZN12_GLOBAL__N_17runRingI6__half10FuncMinMaxIS1_E7ProtoLLLi0ELi1ELi0EEEviiP15ncclDevWorkColl@rel32@hi+12
	s_swappc_b64 s[30:31], s[0:1]
	s_branch .LBB1_7
.LBB1_13:
	scratch_load_dword v63, off, s33        ; 4-byte Folded Reload
	scratch_load_dword v42, off, s33 offset:4 ; 4-byte Folded Reload
	scratch_load_dword v41, off, s33 offset:8 ; 4-byte Folded Reload
	;; [unrolled: 1-line block ×3, first 2 shown]
	v_readlane_b32 s30, v43, 34
	v_readlane_b32 s31, v43, 35
	;; [unrolled: 1-line block ×37, first 2 shown]
	s_or_saveexec_b64 s[2:3], -1
	scratch_load_dword v43, off, s33 offset:16 ; 4-byte Folded Reload
	s_mov_b64 exec, s[2:3]
	s_addk_i32 s32, 0xffe0
	s_mov_b32 s33, s0
	s_waitcnt vmcnt(0)
	s_setpc_b64 s[30:31]
.Lfunc_end1:
	.size	_Z50ncclDevFunc_ReduceScatter_RING_LL_MinMax_f16_0_0_1v, .Lfunc_end1-_Z50ncclDevFunc_ReduceScatter_RING_LL_MinMax_f16_0_0_1v
                                        ; -- End function
	.section	.AMDGPU.csdata,"",@progbits
; Function info:
; codeLenInByte = 1188
; NumSgprs: 74
; NumVgprs: 64
; NumAgprs: 44
; TotalNumVgprs: 108
; ScratchSize: 144
; MemoryBound: 0
	.text
	.p2align	2                               ; -- Begin function _ZN12_GLOBAL__N_17runRingI6__half10FuncMinMaxIS1_E7ProtoLLLi0ELi2ELi0EEEviiP15ncclDevWorkColl
	.type	_ZN12_GLOBAL__N_17runRingI6__half10FuncMinMaxIS1_E7ProtoLLLi0ELi2ELi0EEEviiP15ncclDevWorkColl,@function
_ZN12_GLOBAL__N_17runRingI6__half10FuncMinMaxIS1_E7ProtoLLLi0ELi2ELi0EEEviiP15ncclDevWorkColl: ; @_ZN12_GLOBAL__N_17runRingI6__half10FuncMinMaxIS1_E7ProtoLLLi0ELi2ELi0EEEviiP15ncclDevWorkColl
; %bb.0:
	s_waitcnt vmcnt(0) expcnt(0) lgkmcnt(0)
	s_or_saveexec_b64 s[0:1], -1
	scratch_store_dword off, v63, s32 offset:104 ; 4-byte Folded Spill
	s_mov_b64 exec, s[0:1]
	scratch_store_dword off, v40, s32 offset:100 ; 4-byte Folded Spill
	scratch_store_dword off, v41, s32 offset:96 ; 4-byte Folded Spill
	;; [unrolled: 1-line block ×25, first 2 shown]
	scratch_store_dword off, a43, s32       ; 4-byte Folded Spill
	v_writelane_b32 v63, s34, 0
	v_writelane_b32 v63, s35, 1
	;; [unrolled: 1-line block ×27, first 2 shown]
	s_nop 1
	v_writelane_b32 v63, s31, 27
	s_trap 2
	flat_load_dword v10, v[2:3]
	flat_load_dwordx4 v[20:23], v[2:3] offset:72
	flat_load_dwordx2 v[4:5], v[2:3] offset:88
	ds_read_b32 v8, v0
	ds_read_b64 v[18:19], v0
	v_mov_b32_e32 v24, v0
	v_mov_b32_e32 v16, v1
                                        ; implicit-def: $agpr4_agpr5
	s_waitcnt lgkmcnt(0)
	v_readfirstlane_b32 s24, v8
	s_waitcnt vmcnt(0)
	v_not_b32_sdwa v9, v10 dst_sel:DWORD dst_unused:UNUSED_PAD src0_sel:BYTE_0
	v_add_u32_sdwa v0, v10, v9 dst_sel:DWORD dst_unused:UNUSED_PAD src0_sel:BYTE_1 src1_sel:DWORD
	v_ashrrev_i32_e32 v1, 31, v0
	v_mul_lo_u32 v11, v23, v0
	v_mad_u64_u32 v[6:7], s[0:1], v22, v0, 0
	v_mul_lo_u32 v0, v22, v1
	v_add3_u32 v7, v7, v0, v11
	v_cmp_ne_u32_sdwa s[0:1], v10, v8 src0_sel:BYTE_0 src1_sel:DWORD
                                        ; implicit-def: $vgpr0_vgpr1
	s_and_saveexec_b64 s[2:3], s[0:1]
	s_xor_b64 s[0:1], exec, s[2:3]
	s_cbranch_execz .LBB2_6
; %bb.1:
	v_cmp_ne_u32_sdwa s[2:3], v10, v8 src0_sel:BYTE_1 src1_sel:DWORD
                                        ; implicit-def: $vgpr0_vgpr1
                                        ; implicit-def: $agpr4_agpr5
	s_and_saveexec_b64 s[4:5], s[2:3]
	s_xor_b64 s[2:3], exec, s[4:5]
	s_cbranch_execz .LBB2_3
; %bb.2:
	flat_load_dwordx2 v[0:1], v[2:3] offset:96
	v_add_u32_e32 v8, v8, v9
	v_ashrrev_i32_e32 v9, 31, v8
	v_mul_lo_u32 v9, v22, v9
	v_mul_lo_u32 v10, v23, v8
	v_mad_u64_u32 v[12:13], s[4:5], v22, v8, v[20:21]
	v_add3_u32 v13, v10, v13, v9
	v_accvgpr_write_b32 a4, v12
	v_accvgpr_write_b32 a5, v13
	s_waitcnt vmcnt(0) lgkmcnt(0)
	v_lshrrev_b64 v[0:1], 18, v[0:1]
.LBB2_3:
	s_andn2_saveexec_b64 s[2:3], s[2:3]
	s_cbranch_execz .LBB2_5
; %bb.4:
	flat_load_dword v0, v[2:3] offset:100
	v_lshl_add_u64 v[8:9], v[6:7], 0, v[20:21]
	v_accvgpr_write_b32 a4, v8
	v_accvgpr_write_b32 a5, v9
	v_mov_b64_e32 v[22:23], v[4:5]
	s_waitcnt vmcnt(0) lgkmcnt(0)
	v_lshrrev_b32_e32 v0, 7, v0
.LBB2_5:
	s_or_b64 exec, exec, s[2:3]
.LBB2_6:
	s_andn2_saveexec_b64 s[0:1], s[0:1]
	s_cbranch_execz .LBB2_8
; %bb.7:
	flat_load_dwordx2 v[0:1], v[2:3] offset:96
	v_mov_b64_e32 v[8:9], 0
	v_accvgpr_write_b32 a4, v8
	v_accvgpr_write_b32 a5, v9
	v_mov_b64_e32 v[22:23], v[20:21]
	s_waitcnt vmcnt(0) lgkmcnt(0)
	v_lshlrev_b64 v[0:1], 3, v[0:1]
.LBB2_8:
	s_or_b64 exec, exec, s[0:1]
	s_load_dword s0, s[8:9], 0x0
	flat_load_dwordx2 v[8:9], v[2:3] offset:104
	flat_load_ushort v11, v[2:3] offset:8
	flat_load_dword v10, v[2:3] offset:4
	flat_load_dwordx4 a[6:9], v[2:3] offset:16
	v_mov_b32_e32 v3, 0
	v_and_b32_e32 v1, 63, v24
	s_waitcnt lgkmcnt(0)
	s_cmp_lt_u32 s12, s0
	s_cselect_b32 s0, 12, 18
	s_add_u32 s0, s8, s0
	s_addc_u32 s1, s9, 0
	global_load_ushort v17, v3, s[0:1]
	s_trap 2
	ds_read_b32 v2, v0
	s_mov_b32 s2, 0
	v_mov_b64_e32 v[26:27], 0
	v_cmp_eq_u32_e64 s[0:1], 0, v1
	s_waitcnt lgkmcnt(0)
	v_cmp_gt_i32_e32 vcc, 0, v2
	v_readfirstlane_b32 s4, v2
	s_waitcnt vmcnt(0)
	v_lshrrev_b64 v[10:11], 31, v[10:11]
	v_and_b32_e32 v9, 3, v10
	s_cbranch_vccnz .LBB2_10
; %bb.9:
	s_trap 2
	ds_read_b64 v[10:11], v0
	v_lshlrev_b64 v[2:3], 3, v[2:3]
	s_movk_i32 s2, 0xa8
	s_waitcnt lgkmcnt(0)
	v_lshl_add_u64 v[2:3], v[10:11], 0, v[2:3]
	flat_load_dwordx2 v[2:3], v[2:3]
	v_and_b32_e32 v10, 0xffff, v9
	s_waitcnt vmcnt(0) lgkmcnt(0)
	v_mad_u64_u32 v[2:3], s[2:3], v10, s2, v[2:3]
	flat_load_dwordx2 a[14:15], v[2:3] offset:504
	flat_load_dwordx2 v[28:29], v[2:3] offset:608
	s_mov_b64 s[2:3], 0x1f8
	v_lshl_add_u64 v[2:3], v[2:3], 0, s[2:3]
	v_cndmask_b32_e64 v39, 0, v3, s[0:1]
	v_cndmask_b32_e64 v38, 0, v2, s[0:1]
	s_mov_b32 s2, 1
	s_branch .LBB2_11
.LBB2_10:
	v_mov_b64_e32 v[38:39], v[26:27]
                                        ; implicit-def: $vgpr28_vgpr29
                                        ; implicit-def: $agpr14_agpr15
.LBB2_11:
	s_trap 2
	ds_read_b32 v2, v0
	s_waitcnt lgkmcnt(0)
	v_cmp_gt_i32_e32 vcc, 0, v2
	s_cbranch_vccnz .LBB2_13
; %bb.12:
	s_trap 2
	ds_read_b64 v[10:11], v0
	v_mov_b32_e32 v3, 0
	v_lshlrev_b64 v[2:3], 3, v[2:3]
	v_and_b32_e32 v9, 0xffff, v9
	s_movk_i32 s0, 0xa8
	s_waitcnt lgkmcnt(0)
	v_lshl_add_u64 v[2:3], v[10:11], 0, v[2:3]
	flat_load_dwordx2 v[2:3], v[2:3]
	v_cmp_eq_u32_e32 vcc, 0, v1
	s_waitcnt vmcnt(0) lgkmcnt(0)
	v_mad_u64_u32 v[2:3], s[0:1], v9, s0, v[2:3]
	flat_load_dwordx2 v[32:33], v[2:3]
	flat_load_dwordx2 v[42:43], v[2:3] offset:104
	v_cndmask_b32_e32 v27, 0, v3, vcc
	v_cndmask_b32_e32 v26, 0, v2, vcc
	s_branch .LBB2_14
.LBB2_13:
                                        ; implicit-def: $vgpr42_vgpr43
                                        ; implicit-def: $vgpr32_vgpr33
.LBB2_14:
	v_subrev_u32_e32 v2, 64, v16
	v_mov_b64_e32 v[36:37], 0
	v_cmp_le_i32_e32 vcc, v2, v24
	v_cmp_gt_u32_e64 s[0:1], s2, v1
	v_accvgpr_write_b32 a16, v36
	s_and_b64 s[26:27], vcc, s[0:1]
	v_accvgpr_write_b32 a17, v37
                                        ; implicit-def: $vgpr34_vgpr35
	s_and_saveexec_b64 s[0:1], s[26:27]
	s_cbranch_execz .LBB2_16
; %bb.15:
	flat_load_dwordx2 a[16:17], v[38:39] offset:56
	flat_load_dwordx2 v[34:35], v[38:39] offset:104
.LBB2_16:
	s_or_b64 exec, exec, s[0:1]
	v_cmp_gt_i32_e64 s[0:1], s2, v24
	v_mov_b64_e32 v[12:13], v[36:37]
                                        ; implicit-def: $vgpr48_vgpr49
	s_and_saveexec_b64 s[2:3], s[0:1]
	s_cbranch_execz .LBB2_18
; %bb.17:
	flat_load_dwordx2 v[36:37], v[26:27] offset:56
	s_waitcnt vmcnt(0) lgkmcnt(0)
	flat_load_dwordx2 v[48:49], v[36:37] sc0 sc1
	s_waitcnt vmcnt(0)
	flat_load_dwordx4 v[12:15], v[26:27] offset:96
.LBB2_18:
	s_or_b64 exec, exec, s[2:3]
	v_cmp_ne_u64_e32 vcc, 0, v[22:23]
	v_mov_b64_e32 v[52:53], 0
	s_and_saveexec_b64 s[28:29], vcc
	s_cbranch_execz .LBB2_298
; %bb.19:
	s_ashr_i32 s2, s4, 31
	s_lshr_b32 s2, s2, 29
	s_ashr_i32 s25, s24, 31
	s_add_i32 s4, s4, s2
	v_lshl_add_u64 v[2:3], v[4:5], 0, v[20:21]
	s_lshl_b64 s[2:3], s[24:25], 2
	v_lshl_add_u64 v[40:41], v[2:3], 0, v[6:7]
	v_lshl_add_u64 v[2:3], v[18:19], 0, s[2:3]
	v_accvgpr_write_b32 a1, v17
	v_cmp_ne_u32_sdwa s[36:37], v17, v16 src0_sel:WORD_0 src1_sel:DWORD
	v_and_b32_e32 v1, 63, v31
	v_ashrrev_i32_e32 v17, 31, v16
	v_lshl_add_u64 v[2:3], v[2:3], 0, -4
	v_cmp_eq_u32_e64 s[8:9], 0, v1
	v_lshrrev_b32_e32 v1, 26, v17
	v_accvgpr_write_b32 a19, v3
	v_add_u32_e32 v1, v16, v1
	v_accvgpr_write_b32 a18, v2
	v_ashrrev_i32_e32 v2, 6, v1
	v_ashrrev_i32_e32 v3, 31, v2
	v_accvgpr_write_b32 a21, v3
	v_accvgpr_write_b32 a20, v2
	v_lshlrev_b32_e32 v2, 2, v24
	v_ashrrev_i32_e32 v3, 31, v2
	v_accvgpr_write_b32 a23, v3
	v_accvgpr_read_b32 v4, a6
	v_accvgpr_write_b32 a22, v2
	v_lshlrev_b64 v[2:3], 1, v[2:3]
	v_accvgpr_read_b32 v5, a7
	v_accvgpr_read_b32 v6, a8
	;; [unrolled: 1-line block ×3, first 2 shown]
	v_lshl_add_u64 v[10:11], v[6:7], 0, v[2:3]
	v_lshl_add_u64 v[2:3], v[4:5], 0, v[2:3]
	v_accvgpr_write_b32 a27, v3
	v_accvgpr_write_b32 a26, v2
	v_accvgpr_read_b32 v2, a4
	v_accvgpr_write_b32 a10, v26
	v_and_b32_e32 v1, 1, v8
	v_accvgpr_read_b32 v3, a5
	v_accvgpr_write_b32 a11, v27
	v_and_b32_e32 v26, 0xfffff8, v0
	v_cmp_eq_u32_e64 s[10:11], 1, v1
	v_and_b32_e32 v54, 1, v4
	v_lshl_add_u64 v[4:5], v[2:3], 1, v[10:11]
	v_lshlrev_b32_e32 v1, 1, v0
	v_lshlrev_b32_e32 v0, 4, v0
	v_mov_b32_e32 v55, 0
	v_accvgpr_write_b32 a29, v5
	v_and_b32_e32 v0, 0xfffff80, v0
	v_accvgpr_write_b32 a28, v4
	v_and_b32_e32 v4, 0x1fffff0, v1
	v_mov_b32_e32 v5, v55
	v_lshlrev_b32_e32 v1, 1, v2
	v_accvgpr_write_b32 a35, v0
	v_lshlrev_b32_e32 v0, 4, v40
	s_ashr_i32 s6, s4, 3
	v_accvgpr_write_b32 a31, v5
	v_lshl_add_u32 v1, v24, 3, v1
	v_accvgpr_write_b32 a36, v0
	v_lshlrev_b32_e32 v0, 6, v16
	v_ashrrev_i32_e32 v25, 31, v24
	s_ashr_i32 s54, s4, 7
	s_and_b32 s25, s6, -16
	v_lshlrev_b32_e32 v56, 2, v16
	s_waitcnt vmcnt(0) lgkmcnt(0)
	v_accvgpr_read_b32 v8, a16
	v_accvgpr_write_b32 a25, v11
	v_accvgpr_write_b32 a30, v4
	v_lshlrev_b64 v[4:5], 1, v[40:41]
	v_add_lshl_u32 v2, v1, v6, 3
	v_accvgpr_write_b32 a37, v0
	v_lshl_add_u64 v[0:1], v[24:25], 4, v[32:33]
	v_accvgpr_write_b32 a12, v38
	s_mov_b32 s30, 0
	v_ashrrev_i32_e32 v57, 31, v56
	s_cmp_gt_i32 s24, 2
	v_accvgpr_read_b32 v9, a17
	v_accvgpr_write_b32 a24, v10
	v_accvgpr_write_b32 a33, v5
	;; [unrolled: 1-line block ×3, first 2 shown]
	v_mov_b64_e32 v[10:11], 0
	v_accvgpr_write_b32 a13, v39
	s_mov_b32 s31, 1
	v_mov_b32_e32 v27, v55
	s_mov_b64 s[34:35], 0
	v_cmp_ne_u64_e64 s[2:3], 0, v[36:37]
	v_cmp_ne_u64_e64 s[4:5], 0, v[12:13]
	v_cmp_ne_u32_e64 s[6:7], 64, v16
	v_accvgpr_write_b32 a0, v31
	s_cselect_b64 s[38:39], -1, 0
	v_cmp_ne_u64_e64 s[12:13], 0, v[8:9]
	v_cmp_eq_u64_e64 s[14:15], 0, v[54:55]
	v_accvgpr_write_b32 a32, v4
	v_accvgpr_write_b32 a34, v2
	s_movk_i32 s55, 0x2710
	s_mov_b64 s[40:41], 0x7ffffff8
	s_movk_i32 s56, 0x7c00
	s_movk_i32 s57, 0x7c01
	v_mov_b32_e32 v62, 0x7fff
	v_mov_b64_e32 v[2:3], v[22:23]
	v_mov_b32_e32 v22, 0
	v_lshlrev_b64 v[60:61], 1, v[56:57]
	v_accvgpr_write_b32 a38, v0
	v_lshlrev_b64 v[58:59], 4, v[16:17]
	v_mov_b64_e32 v[52:53], v[10:11]
	s_branch .LBB2_21
.LBB2_20:                               ;   in Loop: Header=BB2_21 Depth=1
	s_or_b64 exec, exec, s[16:17]
	v_accvgpr_read_b32 v0, a28
	v_accvgpr_read_b32 v2, a30
	;; [unrolled: 1-line block ×4, first 2 shown]
	v_lshl_add_u64 v[0:1], v[0:1], 0, v[2:3]
	v_accvgpr_write_b32 a29, v1
	v_accvgpr_read_b32 v2, a2
	v_lshl_add_u64 v[10:11], v[10:11], 0, v[6:7]
	v_accvgpr_write_b32 a28, v0
	v_accvgpr_read_b32 v3, a3
	v_accvgpr_read_b32 v0, a34
	;; [unrolled: 1-line block ×3, first 2 shown]
	v_cmp_ge_u64_e32 vcc, v[10:11], v[2:3]
	v_add_u32_e32 v0, v0, v1
	v_lshl_add_u64 v[28:29], v[28:29], 0, 1
	s_or_b64 s[34:35], vcc, s[34:35]
	v_accvgpr_write_b32 a34, v0
	v_mov_b64_e32 v[26:27], v[6:7]
	s_andn2_b64 exec, exec, s[34:35]
	s_cbranch_execz .LBB2_297
.LBB2_21:                               ; =>This Loop Header: Depth=1
                                        ;     Child Loop BB2_28 Depth 2
                                        ;     Child Loop BB2_45 Depth 2
	;; [unrolled: 1-line block ×5, first 2 shown]
                                        ;       Child Loop BB2_85 Depth 3
                                        ;       Child Loop BB2_101 Depth 3
	;; [unrolled: 1-line block ×3, first 2 shown]
                                        ;         Child Loop BB2_124 Depth 4
                                        ;       Child Loop BB2_186 Depth 3
                                        ;       Child Loop BB2_78 Depth 3
                                        ;     Child Loop BB2_201 Depth 2
                                        ;       Child Loop BB2_209 Depth 3
                                        ;     Child Loop BB2_285 Depth 2
	v_accvgpr_read_b32 v0, a18
	v_accvgpr_read_b32 v1, a19
	flat_load_dword v6, v[0:1]
	v_sub_co_u32_e32 v0, vcc, v2, v10
	v_accvgpr_write_b32 a2, v2
	s_nop 0
	v_subb_co_u32_e32 v1, vcc, v3, v11, vcc
	v_cmp_lt_u64_e32 vcc, v[26:27], v[0:1]
	v_accvgpr_write_b32 a3, v3
	v_accvgpr_write_b32 a6, v26
	v_cndmask_b32_e32 v2, v0, v26, vcc
	v_lshl_add_u32 v0, v2, 2, 12
	v_and_b32_e32 v0, 0x7fffff0, v0
	v_accvgpr_write_b32 a7, v27
	v_accvgpr_write_b32 a40, v0
	s_and_saveexec_b64 s[16:17], s[2:3]
	s_cbranch_execz .LBB2_37
; %bb.22:                               ;   in Loop: Header=BB2_21 Depth=1
	v_lshl_add_u64 v[0:1], v[14:15], 0, 1
	v_lshl_add_u64 v[4:5], v[48:49], 0, 8
	v_cmp_lt_u64_e32 vcc, v[4:5], v[0:1]
	s_and_saveexec_b64 s[18:19], vcc
	s_cbranch_execz .LBB2_34
; %bb.23:                               ;   in Loop: Header=BB2_21 Depth=1
	s_sleep 1
	flat_load_dwordx2 v[48:49], v[36:37] sc1
	v_cmp_eq_u32_e32 vcc, 0, v22
	s_and_saveexec_b64 s[20:21], vcc
	s_cbranch_execz .LBB2_33
; %bb.24:                               ;   in Loop: Header=BB2_21 Depth=1
	v_cndmask_b32_e64 v3, 0, 1, vcc
	s_mov_b64 s[22:23], 0
                                        ; implicit-def: $sgpr42_sgpr43
	s_branch .LBB2_28
.LBB2_25:                               ;   in Loop: Header=BB2_28 Depth=2
	s_or_b64 exec, exec, s[50:51]
	s_orn2_b64 s[48:49], s[48:49], exec
.LBB2_26:                               ;   in Loop: Header=BB2_28 Depth=2
	s_or_b64 exec, exec, s[46:47]
	s_xor_b64 vcc, s[48:49], -1
	s_andn2_b64 s[42:43], s[42:43], exec
	s_and_b64 vcc, vcc, exec
	s_or_b64 s[42:43], s[42:43], vcc
.LBB2_27:                               ;   in Loop: Header=BB2_28 Depth=2
	s_or_b64 exec, exec, s[44:45]
	s_and_b64 vcc, exec, s[42:43]
	s_or_b64 s[22:23], vcc, s[22:23]
	s_andn2_b64 exec, exec, s[22:23]
	s_cbranch_execz .LBB2_32
.LBB2_28:                               ;   Parent Loop BB2_21 Depth=1
                                        ; =>  This Inner Loop Header: Depth=2
	s_waitcnt vmcnt(0) lgkmcnt(0)
	v_lshl_add_u64 v[4:5], v[48:49], 0, 8
	v_cmp_lt_u64_e32 vcc, v[4:5], v[0:1]
	v_mov_b32_e32 v22, 0
	s_or_b64 s[42:43], s[42:43], exec
	s_and_saveexec_b64 s[44:45], vcc
	s_cbranch_execz .LBB2_27
; %bb.29:                               ;   in Loop: Header=BB2_28 Depth=2
	s_sleep 1
	flat_load_dwordx2 v[48:49], v[36:37] sc1
	v_add_u32_e32 v3, 1, v3
	v_cmp_eq_u32_e32 vcc, s55, v3
	s_mov_b64 s[48:49], -1
	v_mov_b32_e32 v22, 0
	s_and_saveexec_b64 s[46:47], vcc
	s_cbranch_execz .LBB2_26
; %bb.30:                               ;   in Loop: Header=BB2_28 Depth=2
	s_trap 2
	ds_read_b64 v[4:5], v0
	v_mov_b32_e32 v3, 0
	v_mov_b32_e32 v22, 0
	s_waitcnt vmcnt(0) lgkmcnt(0)
	flat_load_dword v4, v[4:5] sc0 sc1
	s_waitcnt vmcnt(0) lgkmcnt(0)
	buffer_inv sc0 sc1
	v_cmp_ne_u32_e32 vcc, 0, v4
	s_and_saveexec_b64 s[50:51], vcc
	s_cbranch_execz .LBB2_25
; %bb.31:                               ;   in Loop: Header=BB2_28 Depth=2
	v_mov_b32_e32 v22, 1
	s_xor_b64 s[48:49], exec, -1
	ds_write_b32 v0, v4
	s_trap 2
	s_branch .LBB2_25
.LBB2_32:                               ;   in Loop: Header=BB2_21 Depth=1
	s_or_b64 exec, exec, s[22:23]
.LBB2_33:                               ;   in Loop: Header=BB2_21 Depth=1
	s_or_b64 exec, exec, s[20:21]
.LBB2_34:                               ;   in Loop: Header=BB2_21 Depth=1
	s_or_b64 exec, exec, s[18:19]
	s_and_saveexec_b64 s[18:19], s[4:5]
	s_cbranch_execz .LBB2_36
; %bb.35:                               ;   in Loop: Header=BB2_21 Depth=1
	v_and_b32_e32 v54, 0x7ffffff8, v14
	v_mov_b32_e32 v3, s25
	v_cmp_eq_u64_e32 vcc, s[40:41], v[54:55]
	v_accvgpr_read_b32 v4, a40
	s_nop 0
	v_cndmask_b32_e32 v4, v4, v3, vcc
	v_and_b32_e32 v3, 7, v14
	v_ashrrev_i32_e32 v5, 31, v4
	v_mad_u64_u32 v[8:9], s[20:21], v3, 24, v[12:13]
	flat_store_dwordx2 v[8:9], v[4:5] offset:8 sc0 sc1
	s_waitcnt vmcnt(0)
.LBB2_36:                               ;   in Loop: Header=BB2_21 Depth=1
	s_or_b64 exec, exec, s[18:19]
	v_mov_b64_e32 v[14:15], v[0:1]
.LBB2_37:                               ;   in Loop: Header=BB2_21 Depth=1
	s_or_b64 exec, exec, s[16:17]
	s_and_saveexec_b64 s[16:17], s[6:7]
	s_cbranch_execz .LBB2_56
; %bb.38:                               ;   in Loop: Header=BB2_21 Depth=1
	s_and_saveexec_b64 s[18:19], s[36:37]
	s_xor_b64 s[18:19], exec, s[18:19]
	s_cbranch_execz .LBB2_53
; %bb.39:                               ;   in Loop: Header=BB2_21 Depth=1
	s_and_saveexec_b64 s[20:21], s[8:9]
	s_cbranch_execz .LBB2_52
; %bb.40:                               ;   in Loop: Header=BB2_21 Depth=1
	s_mov_b64 s[42:43], exec
	v_mbcnt_lo_u32_b32 v0, s42, 0
	v_mbcnt_hi_u32_b32 v0, s43, v0
	v_cmp_eq_u32_e32 vcc, 0, v0
	s_waitcnt lgkmcnt(0)
	s_and_saveexec_b64 s[22:23], vcc
	s_cbranch_execz .LBB2_42
; %bb.41:                               ;   in Loop: Header=BB2_21 Depth=1
	s_bcnt1_i32_b64 vcc_lo, s[42:43]
	v_mov_b32_e32 v54, vcc_lo
	ds_add_u64 v0, v[54:55]
	s_trap 2
.LBB2_42:                               ;   in Loop: Header=BB2_21 Depth=1
	s_or_b64 exec, exec, s[22:23]
	s_trap 2
	ds_read_b64 v[0:1], v0
	v_accvgpr_read_b32 v4, a20
	v_accvgpr_read_b32 v5, a21
	v_lshl_add_u64 v[52:53], v[52:53], 0, v[4:5]
	s_waitcnt lgkmcnt(0)
	v_cmp_lt_u64_e32 vcc, v[0:1], v[52:53]
	s_and_saveexec_b64 s[22:23], vcc
	s_cbranch_execz .LBB2_51
; %bb.43:                               ;   in Loop: Header=BB2_21 Depth=1
	s_mov_b32 s52, 0
	s_mov_b64 s[42:43], 0
                                        ; implicit-def: $sgpr44_sgpr45
                                        ; implicit-def: $sgpr46_sgpr47
	s_branch .LBB2_45
.LBB2_44:                               ;   in Loop: Header=BB2_45 Depth=2
	s_or_b64 exec, exec, s[50:51]
	s_and_b64 vcc, exec, vcc
	s_or_b64 s[42:43], vcc, s[42:43]
	s_andn2_b64 vcc, s[44:45], exec
	s_and_b64 s[44:45], s[46:47], exec
	s_or_b64 s[44:45], vcc, s[44:45]
	s_andn2_b64 exec, exec, s[42:43]
	s_cbranch_execz .LBB2_49
.LBB2_45:                               ;   Parent Loop BB2_21 Depth=1
                                        ; =>  This Inner Loop Header: Depth=2
	s_add_i32 s52, s52, 1
	s_cmpk_lg_i32 s52, 0x2710
	s_cselect_b64 s[48:49], -1, 0
	s_and_b64 vcc, exec, s[48:49]
                                        ; implicit-def: $sgpr50_sgpr51
	s_cbranch_vccnz .LBB2_47
; %bb.46:                               ;   in Loop: Header=BB2_45 Depth=2
	s_trap 2
	ds_read_b64 v[0:1], v0
	s_andn2_b64 s[48:49], s[48:49], exec
	s_mov_b32 s52, 0
	s_mov_b64 s[50:51], -1
	s_waitcnt vmcnt(0) lgkmcnt(0)
	flat_load_dword v0, v[0:1] sc0 sc1
	s_waitcnt vmcnt(0) lgkmcnt(0)
	buffer_inv sc0 sc1
	v_cmp_eq_u32_e32 vcc, 0, v0
	s_and_b64 vcc, vcc, exec
	s_or_b64 s[48:49], s[48:49], vcc
.LBB2_47:                               ;   in Loop: Header=BB2_45 Depth=2
	s_andn2_b64 s[46:47], s[46:47], exec
	s_and_b64 s[50:51], s[50:51], exec
	s_mov_b64 vcc, -1
	s_or_b64 s[46:47], s[46:47], s[50:51]
	s_and_saveexec_b64 s[50:51], s[48:49]
	s_cbranch_execz .LBB2_44
; %bb.48:                               ;   in Loop: Header=BB2_45 Depth=2
	s_sleep 1
	s_trap 2
	ds_read_b64 v[0:1], v0
	s_andn2_b64 s[46:47], s[46:47], exec
	s_waitcnt lgkmcnt(0)
	v_cmp_ge_u64_e32 vcc, v[0:1], v[52:53]
	s_orn2_b64 vcc, vcc, exec
	s_branch .LBB2_44
.LBB2_49:                               ;   in Loop: Header=BB2_21 Depth=1
	s_or_b64 exec, exec, s[42:43]
	s_and_saveexec_b64 vcc, s[44:45]
	s_xor_b64 vcc, exec, vcc
	s_cbranch_execz .LBB2_51
; %bb.50:                               ;   in Loop: Header=BB2_21 Depth=1
	v_mov_b32_e32 v0, 1
	ds_write_b32 v0, v0
	s_trap 2
.LBB2_51:                               ;   in Loop: Header=BB2_21 Depth=1
	s_or_b64 exec, exec, s[22:23]
	;;#ASMSTART
	s_wakeup
	;;#ASMEND
.LBB2_52:                               ;   in Loop: Header=BB2_21 Depth=1
	s_or_b64 exec, exec, s[20:21]
.LBB2_53:                               ;   in Loop: Header=BB2_21 Depth=1
	s_andn2_saveexec_b64 s[18:19], s[18:19]
	s_cbranch_execz .LBB2_55
; %bb.54:                               ;   in Loop: Header=BB2_21 Depth=1
	s_waitcnt lgkmcnt(0)
	s_barrier
.LBB2_55:                               ;   in Loop: Header=BB2_21 Depth=1
	s_or_b64 exec, exec, s[18:19]
.LBB2_56:                               ;   in Loop: Header=BB2_21 Depth=1
	s_or_b64 exec, exec, s[16:17]
	v_accvgpr_read_b32 v0, a22
	v_accvgpr_read_b32 v1, a23
	v_sub_u32_e32 v17, v2, v0
	v_cmp_lt_i32_e64 s[16:17], 0, v17
	v_and_b32_e32 v1, 7, v42
	v_mov_b32_e32 v0, v24
	s_and_saveexec_b64 s[18:19], s[16:17]
	s_cbranch_execz .LBB2_64
; %bb.57:                               ;   in Loop: Header=BB2_21 Depth=1
	v_accvgpr_read_b32 v4, a28
	v_accvgpr_read_b32 v20, a32
	s_waitcnt vmcnt(0) lgkmcnt(0)
	v_ashrrev_i32_e32 v0, 31, v6
	v_accvgpr_read_b32 v5, a29
	v_accvgpr_read_b32 v21, a33
	v_mad_u64_u32 v[4:5], s[20:21], v20, v6, v[4:5]
	v_mul_lo_u32 v7, v21, v6
	v_mul_lo_u32 v0, v20, v0
	;; [unrolled: 1-line block ×3, first 2 shown]
	v_add3_u32 v5, v7, v5, v0
	v_accvgpr_read_b32 v0, a34
	v_accvgpr_read_b32 v7, a36
	v_accvgpr_read_b32 v20, a38
	v_ashrrev_i32_e32 v9, 31, v8
	v_mov_b32_e32 v2, v55
	v_mov_b32_e32 v3, v42
	v_mad_u64_u32 v[6:7], s[20:21], v7, v6, v[0:1]
	v_accvgpr_read_b32 v21, a39
	v_lshl_add_u64 v[2:3], v[2:3], 0, s[30:31]
	v_lshl_add_u64 v[8:9], v[8:9], 4, v[20:21]
	s_mov_b64 s[20:21], 0
	v_mov_b32_e32 v7, v17
	v_mov_b32_e32 v0, v24
	s_branch .LBB2_59
.LBB2_58:                               ;   in Loop: Header=BB2_59 Depth=2
	s_or_b64 exec, exec, s[22:23]
	s_waitcnt vmcnt(0)
	v_alignbit_b32 v20, v25, v23, v6
	v_alignbit_b32 v21, v31, v25, v6
	v_sub_u32_e32 v7, v7, v56
	v_or_b32_e32 v44, v2, v20
	v_or_b32_e32 v46, v2, v21
	v_mov_b32_e32 v45, v3
	v_mov_b32_e32 v47, v3
	v_accvgpr_read_b32 v20, a37
	v_cmp_gt_i32_e32 vcc, 1, v7
	global_store_dwordx4 v[8:9], v[44:47], off
	v_add_u32_e32 v0, v0, v16
	v_lshl_add_u64 v[4:5], v[4:5], 0, v[60:61]
	v_add_u32_e32 v6, v6, v20
	s_or_b64 s[20:21], vcc, s[20:21]
	v_lshl_add_u64 v[8:9], v[8:9], 0, v[58:59]
	s_andn2_b64 exec, exec, s[20:21]
	s_cbranch_execz .LBB2_63
.LBB2_59:                               ;   Parent Loop BB2_21 Depth=1
                                        ; =>  This Inner Loop Header: Depth=2
	v_and_b32_e32 v20, -4, v4
	v_mov_b32_e32 v21, v5
	global_load_dword v23, v[20:21], off nt
	v_min_u32_e32 v25, 4, v7
	v_and_b32_e32 v30, 3, v4
	v_mov_b32_e32 v31, 0
	v_lshlrev_b32_e32 v54, 1, v25
	v_lshl_add_u64 v[50:51], v[30:31], 0, v[54:55]
	v_cmp_lt_u64_e32 vcc, 4, v[50:51]
	v_mov_b32_e32 v25, 0
	s_and_saveexec_b64 s[22:23], vcc
	s_cbranch_execz .LBB2_61
; %bb.60:                               ;   in Loop: Header=BB2_59 Depth=2
	global_load_dword v25, v[20:21], off offset:4 nt
.LBB2_61:                               ;   in Loop: Header=BB2_59 Depth=2
	s_or_b64 exec, exec, s[22:23]
	v_cmp_lt_u64_e32 vcc, 8, v[50:51]
	s_and_saveexec_b64 s[22:23], vcc
	s_cbranch_execz .LBB2_58
; %bb.62:                               ;   in Loop: Header=BB2_59 Depth=2
	global_load_dword v31, v[20:21], off offset:8 nt
	s_branch .LBB2_58
.LBB2_63:                               ;   in Loop: Header=BB2_21 Depth=1
	s_or_b64 exec, exec, s[20:21]
.LBB2_64:                               ;   in Loop: Header=BB2_21 Depth=1
	s_or_b64 exec, exec, s[18:19]
	v_and_b32_e32 v54, 0x7ffffff8, v42
	v_cmp_eq_u64_e32 vcc, s[40:41], v[54:55]
	v_cmp_gt_i32_e64 s[18:19], s54, v0
	s_and_b64 s[20:21], vcc, s[18:19]
	s_and_saveexec_b64 s[18:19], s[20:21]
	s_cbranch_execz .LBB2_67
; %bb.65:                               ;   in Loop: Header=BB2_21 Depth=1
	v_mul_lo_u32 v4, v1, s54
	v_ashrrev_i32_e32 v5, 31, v4
	v_ashrrev_i32_e32 v1, 31, v0
	v_lshlrev_b64 v[4:5], 4, v[4:5]
	v_mov_b32_e32 v2, v55
	v_mov_b32_e32 v3, v42
	v_lshl_add_u64 v[4:5], v[0:1], 4, v[4:5]
	v_lshl_add_u64 v[2:3], v[2:3], 0, s[30:31]
	s_waitcnt vmcnt(0) lgkmcnt(0)
	v_lshl_add_u64 v[6:7], v[32:33], 0, v[4:5]
	s_mov_b64 s[20:21], 0
.LBB2_66:                               ;   Parent Loop BB2_21 Depth=1
                                        ; =>  This Inner Loop Header: Depth=2
	v_add_u32_e32 v0, v0, v16
	v_mov_b32_e32 v4, v2
	v_mov_b32_e32 v5, v3
	v_cmp_le_i32_e32 vcc, s54, v0
	global_store_dwordx4 v[6:7], v[2:5], off
	s_or_b64 s[20:21], vcc, s[20:21]
	v_lshl_add_u64 v[6:7], v[6:7], 0, v[58:59]
	s_andn2_b64 exec, exec, s[20:21]
	s_cbranch_execnz .LBB2_66
.LBB2_67:                               ;   in Loop: Header=BB2_21 Depth=1
	s_or_b64 exec, exec, s[18:19]
	v_accvgpr_read_b32 v0, a4
	v_accvgpr_read_b32 v1, a5
	s_waitcnt vmcnt(0) lgkmcnt(0)
	v_accvgpr_read_b32 v6, a6
	v_lshl_add_u64 v[2:3], v[10:11], 0, v[0:1]
	s_andn2_b64 vcc, exec, s[38:39]
	v_lshl_add_u64 v[30:31], v[42:43], 0, 1
	v_accvgpr_read_b32 v7, a7
	s_cbranch_vccnz .LBB2_197
; %bb.68:                               ;   in Loop: Header=BB2_21 Depth=1
	v_accvgpr_read_b32 v0, a24
	v_accvgpr_read_b32 v1, a25
	v_accvgpr_write_b32 a43, v3
	v_accvgpr_write_b32 a42, v2
	v_lshl_add_u64 v[20:21], v[2:3], 1, v[0:1]
	v_add_u16_e32 v25, 1, v42
	s_mov_b32 s58, 2
	s_branch .LBB2_70
.LBB2_69:                               ;   in Loop: Header=BB2_70 Depth=2
	s_or_b64 exec, exec, s[18:19]
	s_add_i32 s58, s58, 1
	v_lshl_add_u64 v[28:29], v[28:29], 0, 1
	v_lshl_add_u64 v[30:31], v[30:31], 0, 1
	s_cmp_eq_u32 s58, s24
	v_add_u16_e32 v25, 1, v25
	s_cbranch_scc1 .LBB2_198
.LBB2_70:                               ;   Parent Loop BB2_21 Depth=1
                                        ; =>  This Loop Header: Depth=2
                                        ;       Child Loop BB2_85 Depth 3
                                        ;       Child Loop BB2_101 Depth 3
	;; [unrolled: 1-line block ×3, first 2 shown]
                                        ;         Child Loop BB2_124 Depth 4
                                        ;       Child Loop BB2_186 Depth 3
                                        ;       Child Loop BB2_78 Depth 3
	s_sub_i32 s18, s24, s58
	s_ashr_i32 s19, s18, 31
	s_lshl_b64 s[18:19], s[18:19], 2
	v_lshl_add_u64 v[0:1], v[18:19], 0, s[18:19]
	s_waitcnt vmcnt(0) lgkmcnt(0)
	flat_load_dword v2, v[0:1]
	s_and_saveexec_b64 s[18:19], s[2:3]
	s_cbranch_execnz .LBB2_79
; %bb.71:                               ;   in Loop: Header=BB2_70 Depth=2
	s_or_b64 exec, exec, s[18:19]
	s_and_saveexec_b64 s[18:19], s[6:7]
	s_cbranch_execnz .LBB2_94
.LBB2_72:                               ;   in Loop: Header=BB2_70 Depth=2
	s_or_b64 exec, exec, s[18:19]
	v_mov_b32_e32 v42, v24
	s_and_saveexec_b64 s[42:43], s[16:17]
	s_cbranch_execnz .LBB2_112
.LBB2_73:                               ;   in Loop: Header=BB2_70 Depth=2
	s_or_b64 exec, exec, s[42:43]
	s_and_saveexec_b64 s[18:19], s[6:7]
	s_cbranch_execnz .LBB2_179
.LBB2_74:                               ;   in Loop: Header=BB2_70 Depth=2
	s_or_b64 exec, exec, s[18:19]
	s_and_saveexec_b64 s[18:19], s[12:13]
	s_cbranch_execz .LBB2_76
.LBB2_75:                               ;   in Loop: Header=BB2_70 Depth=2
	v_accvgpr_read_b32 v0, a16
	v_lshl_add_u64 v[34:35], v[34:35], 0, 1
	v_accvgpr_read_b32 v1, a17
	flat_store_dwordx2 v[0:1], v[34:35] sc0 sc1
.LBB2_76:                               ;   in Loop: Header=BB2_70 Depth=2
	s_or_b64 exec, exec, s[18:19]
	v_and_b32_e32 v54, 0x7ffffff8, v30
	v_cmp_eq_u64_e32 vcc, s[40:41], v[54:55]
	v_cmp_gt_i32_e64 s[18:19], s54, v42
	s_and_b64 s[20:21], vcc, s[18:19]
	s_and_saveexec_b64 s[18:19], s[20:21]
	s_cbranch_execz .LBB2_69
; %bb.77:                               ;   in Loop: Header=BB2_70 Depth=2
	v_and_b32_e32 v0, 7, v25
	v_mul_lo_u32 v0, s54, v0
	v_ashrrev_i32_e32 v1, 31, v0
	v_lshlrev_b64 v[0:1], 4, v[0:1]
	v_ashrrev_i32_e32 v43, 31, v42
	s_waitcnt vmcnt(0) lgkmcnt(0)
	v_mov_b32_e32 v2, v55
	v_mov_b32_e32 v3, v30
	v_lshl_add_u64 v[0:1], v[42:43], 4, v[0:1]
	v_lshl_add_u64 v[2:3], v[2:3], 0, s[30:31]
	;; [unrolled: 1-line block ×3, first 2 shown]
	s_mov_b64 s[20:21], 0
.LBB2_78:                               ;   Parent Loop BB2_21 Depth=1
                                        ;     Parent Loop BB2_70 Depth=2
                                        ; =>    This Inner Loop Header: Depth=3
	v_add_u32_e32 v42, v42, v16
	v_mov_b32_e32 v4, v2
	v_mov_b32_e32 v5, v3
	v_cmp_le_i32_e32 vcc, s54, v42
	global_store_dwordx4 v[0:1], v[2:5], off
	s_or_b64 s[20:21], vcc, s[20:21]
	v_lshl_add_u64 v[0:1], v[0:1], 0, v[58:59]
	s_andn2_b64 exec, exec, s[20:21]
	s_cbranch_execnz .LBB2_78
	s_branch .LBB2_69
.LBB2_79:                               ;   in Loop: Header=BB2_70 Depth=2
	v_lshl_add_u64 v[0:1], v[14:15], 0, 1
	v_lshl_add_u64 v[4:5], v[48:49], 0, 8
	v_cmp_lt_u64_e32 vcc, v[4:5], v[0:1]
	s_and_saveexec_b64 s[20:21], vcc
	s_cbranch_execz .LBB2_91
; %bb.80:                               ;   in Loop: Header=BB2_70 Depth=2
	s_sleep 1
	flat_load_dwordx2 v[48:49], v[36:37] sc1
	v_cmp_eq_u32_e32 vcc, 0, v22
	s_and_saveexec_b64 s[22:23], vcc
	s_cbranch_execz .LBB2_90
; %bb.81:                               ;   in Loop: Header=BB2_70 Depth=2
	v_cndmask_b32_e64 v3, 0, 1, vcc
	s_mov_b64 s[42:43], 0
                                        ; implicit-def: $sgpr44_sgpr45
	s_branch .LBB2_85
.LBB2_82:                               ;   in Loop: Header=BB2_85 Depth=3
	s_or_b64 exec, exec, s[52:53]
	s_orn2_b64 s[50:51], s[50:51], exec
.LBB2_83:                               ;   in Loop: Header=BB2_85 Depth=3
	s_or_b64 exec, exec, s[48:49]
	s_xor_b64 vcc, s[50:51], -1
	s_andn2_b64 s[44:45], s[44:45], exec
	s_and_b64 vcc, vcc, exec
	s_or_b64 s[44:45], s[44:45], vcc
.LBB2_84:                               ;   in Loop: Header=BB2_85 Depth=3
	s_or_b64 exec, exec, s[46:47]
	s_and_b64 vcc, exec, s[44:45]
	s_or_b64 s[42:43], vcc, s[42:43]
	s_andn2_b64 exec, exec, s[42:43]
	s_cbranch_execz .LBB2_89
.LBB2_85:                               ;   Parent Loop BB2_21 Depth=1
                                        ;     Parent Loop BB2_70 Depth=2
                                        ; =>    This Inner Loop Header: Depth=3
	s_waitcnt vmcnt(0) lgkmcnt(0)
	v_lshl_add_u64 v[4:5], v[48:49], 0, 8
	v_cmp_lt_u64_e32 vcc, v[4:5], v[0:1]
	v_mov_b32_e32 v22, 0
	s_or_b64 s[44:45], s[44:45], exec
	s_and_saveexec_b64 s[46:47], vcc
	s_cbranch_execz .LBB2_84
; %bb.86:                               ;   in Loop: Header=BB2_85 Depth=3
	s_sleep 1
	flat_load_dwordx2 v[48:49], v[36:37] sc1
	v_add_u32_e32 v3, 1, v3
	v_cmp_eq_u32_e32 vcc, s55, v3
	s_mov_b64 s[50:51], -1
	v_mov_b32_e32 v22, 0
	s_and_saveexec_b64 s[48:49], vcc
	s_cbranch_execz .LBB2_83
; %bb.87:                               ;   in Loop: Header=BB2_85 Depth=3
	s_trap 2
	ds_read_b64 v[4:5], v0
	v_mov_b32_e32 v3, 0
	v_mov_b32_e32 v22, 0
	s_waitcnt vmcnt(0) lgkmcnt(0)
	flat_load_dword v4, v[4:5] sc0 sc1
	s_waitcnt vmcnt(0) lgkmcnt(0)
	buffer_inv sc0 sc1
	v_cmp_ne_u32_e32 vcc, 0, v4
	s_and_saveexec_b64 s[52:53], vcc
	s_cbranch_execz .LBB2_82
; %bb.88:                               ;   in Loop: Header=BB2_85 Depth=3
	v_mov_b32_e32 v22, 1
	s_xor_b64 s[50:51], exec, -1
	ds_write_b32 v0, v4
	s_trap 2
	s_branch .LBB2_82
.LBB2_89:                               ;   in Loop: Header=BB2_70 Depth=2
	s_or_b64 exec, exec, s[42:43]
.LBB2_90:                               ;   in Loop: Header=BB2_70 Depth=2
	s_or_b64 exec, exec, s[22:23]
.LBB2_91:                               ;   in Loop: Header=BB2_70 Depth=2
	s_or_b64 exec, exec, s[20:21]
	s_and_saveexec_b64 s[20:21], s[4:5]
	s_cbranch_execz .LBB2_93
; %bb.92:                               ;   in Loop: Header=BB2_70 Depth=2
	v_and_b32_e32 v54, 0x7ffffff8, v14
	v_mov_b32_e32 v3, s25
	v_cmp_eq_u64_e32 vcc, s[40:41], v[54:55]
	v_accvgpr_read_b32 v4, a40
	s_nop 0
	v_cndmask_b32_e32 v4, v4, v3, vcc
	v_and_b32_e32 v3, 7, v14
	v_ashrrev_i32_e32 v5, 31, v4
	v_mad_u64_u32 v[6:7], s[22:23], v3, 24, v[12:13]
	flat_store_dwordx2 v[6:7], v[4:5] offset:8 sc0 sc1
	s_waitcnt vmcnt(0)
	v_accvgpr_read_b32 v6, a6
	v_accvgpr_read_b32 v7, a7
.LBB2_93:                               ;   in Loop: Header=BB2_70 Depth=2
	s_or_b64 exec, exec, s[20:21]
	v_mov_b64_e32 v[14:15], v[0:1]
	s_or_b64 exec, exec, s[18:19]
	s_and_saveexec_b64 s[18:19], s[6:7]
	s_cbranch_execz .LBB2_72
.LBB2_94:                               ;   in Loop: Header=BB2_70 Depth=2
	s_and_saveexec_b64 s[20:21], s[36:37]
	s_xor_b64 s[20:21], exec, s[20:21]
	s_cbranch_execz .LBB2_109
; %bb.95:                               ;   in Loop: Header=BB2_70 Depth=2
	s_and_saveexec_b64 s[22:23], s[8:9]
	s_cbranch_execz .LBB2_108
; %bb.96:                               ;   in Loop: Header=BB2_70 Depth=2
	s_mov_b64 s[44:45], exec
	v_mbcnt_lo_u32_b32 v0, s44, 0
	v_mbcnt_hi_u32_b32 v0, s45, v0
	v_cmp_eq_u32_e32 vcc, 0, v0
	s_waitcnt lgkmcnt(0)
	s_and_saveexec_b64 s[42:43], vcc
	s_cbranch_execz .LBB2_98
; %bb.97:                               ;   in Loop: Header=BB2_70 Depth=2
	s_bcnt1_i32_b64 vcc_lo, s[44:45]
	v_mov_b32_e32 v54, vcc_lo
	ds_add_u64 v0, v[54:55]
	s_trap 2
.LBB2_98:                               ;   in Loop: Header=BB2_70 Depth=2
	s_or_b64 exec, exec, s[42:43]
	s_trap 2
	ds_read_b64 v[0:1], v0
	v_accvgpr_read_b32 v4, a20
	v_accvgpr_read_b32 v5, a21
	v_lshl_add_u64 v[52:53], v[52:53], 0, v[4:5]
	s_waitcnt lgkmcnt(0)
	v_cmp_lt_u64_e32 vcc, v[0:1], v[52:53]
	s_and_saveexec_b64 s[42:43], vcc
	s_cbranch_execz .LBB2_107
; %bb.99:                               ;   in Loop: Header=BB2_70 Depth=2
	s_mov_b32 s59, 0
	s_mov_b64 s[44:45], 0
                                        ; implicit-def: $sgpr46_sgpr47
                                        ; implicit-def: $sgpr48_sgpr49
	s_branch .LBB2_101
.LBB2_100:                              ;   in Loop: Header=BB2_101 Depth=3
	s_or_b64 exec, exec, s[52:53]
	s_and_b64 vcc, exec, vcc
	s_or_b64 s[44:45], vcc, s[44:45]
	s_andn2_b64 vcc, s[46:47], exec
	s_and_b64 s[46:47], s[48:49], exec
	s_or_b64 s[46:47], vcc, s[46:47]
	s_andn2_b64 exec, exec, s[44:45]
	s_cbranch_execz .LBB2_105
.LBB2_101:                              ;   Parent Loop BB2_21 Depth=1
                                        ;     Parent Loop BB2_70 Depth=2
                                        ; =>    This Inner Loop Header: Depth=3
	s_add_i32 s59, s59, 1
	s_cmpk_lg_i32 s59, 0x2710
	s_cselect_b64 s[50:51], -1, 0
	s_and_b64 vcc, exec, s[50:51]
                                        ; implicit-def: $sgpr52_sgpr53
	s_cbranch_vccnz .LBB2_103
; %bb.102:                              ;   in Loop: Header=BB2_101 Depth=3
	s_trap 2
	ds_read_b64 v[0:1], v0
	s_andn2_b64 s[50:51], s[50:51], exec
	s_mov_b32 s59, 0
	s_mov_b64 s[52:53], -1
	s_waitcnt vmcnt(0) lgkmcnt(0)
	flat_load_dword v0, v[0:1] sc0 sc1
	s_waitcnt vmcnt(0) lgkmcnt(0)
	buffer_inv sc0 sc1
	v_cmp_eq_u32_e32 vcc, 0, v0
	s_and_b64 vcc, vcc, exec
	s_or_b64 s[50:51], s[50:51], vcc
.LBB2_103:                              ;   in Loop: Header=BB2_101 Depth=3
	s_andn2_b64 s[48:49], s[48:49], exec
	s_and_b64 s[52:53], s[52:53], exec
	s_mov_b64 vcc, -1
	s_or_b64 s[48:49], s[48:49], s[52:53]
	s_and_saveexec_b64 s[52:53], s[50:51]
	s_cbranch_execz .LBB2_100
; %bb.104:                              ;   in Loop: Header=BB2_101 Depth=3
	s_sleep 1
	s_trap 2
	ds_read_b64 v[0:1], v0
	s_andn2_b64 s[48:49], s[48:49], exec
	s_waitcnt lgkmcnt(0)
	v_cmp_ge_u64_e32 vcc, v[0:1], v[52:53]
	s_orn2_b64 vcc, vcc, exec
	s_branch .LBB2_100
.LBB2_105:                              ;   in Loop: Header=BB2_70 Depth=2
	s_or_b64 exec, exec, s[44:45]
	s_and_saveexec_b64 vcc, s[46:47]
	s_xor_b64 vcc, exec, vcc
	s_cbranch_execz .LBB2_107
; %bb.106:                              ;   in Loop: Header=BB2_70 Depth=2
	v_mov_b32_e32 v0, 1
	ds_write_b32 v0, v0
	s_trap 2
.LBB2_107:                              ;   in Loop: Header=BB2_70 Depth=2
	s_or_b64 exec, exec, s[42:43]
	;;#ASMSTART
	s_wakeup
	;;#ASMEND
.LBB2_108:                              ;   in Loop: Header=BB2_70 Depth=2
	s_or_b64 exec, exec, s[22:23]
.LBB2_109:                              ;   in Loop: Header=BB2_70 Depth=2
	s_andn2_saveexec_b64 s[20:21], s[20:21]
	s_cbranch_execz .LBB2_111
; %bb.110:                              ;   in Loop: Header=BB2_70 Depth=2
	s_waitcnt lgkmcnt(0)
	s_barrier
.LBB2_111:                              ;   in Loop: Header=BB2_70 Depth=2
	s_or_b64 exec, exec, s[20:21]
	s_or_b64 exec, exec, s[18:19]
	v_mov_b32_e32 v42, v24
	s_and_saveexec_b64 s[42:43], s[16:17]
	s_cbranch_execz .LBB2_73
.LBB2_112:                              ;   in Loop: Header=BB2_70 Depth=2
	s_waitcnt vmcnt(0) lgkmcnt(0)
	v_ashrrev_i32_e32 v0, 31, v2
	v_mul_lo_u32 v3, v41, v2
	v_mul_lo_u32 v4, v40, v0
	v_mad_u64_u32 v[0:1], s[18:19], v40, v2, 0
	v_and_b32_e32 v2, 7, v28
	v_add3_u32 v1, v1, v4, v3
	v_mul_lo_u32 v2, v2, s54
	v_accvgpr_read_b32 v4, a14
	v_ashrrev_i32_e32 v3, 31, v2
	v_accvgpr_read_b32 v5, a15
	v_lshl_add_u64 v[44:45], v[2:3], 4, v[4:5]
	v_and_b32_e32 v2, 7, v30
	v_mul_lo_u32 v2, v2, s54
	v_ashrrev_i32_e32 v3, 31, v2
	v_lshl_add_u64 v[50:51], v[2:3], 4, v[32:33]
	v_mov_b32_e32 v2, v55
	v_mov_b32_e32 v3, v30
	v_lshl_add_u64 v[0:1], v[0:1], 1, v[20:21]
	v_add_u32_e32 v26, 1, v28
	v_lshl_add_u64 v[6:7], v[2:3], 0, s[30:31]
	s_mov_b64 s[44:45], 0
	v_mov_b32_e32 v27, v17
	v_mov_b32_e32 v42, v24
	s_branch .LBB2_116
.LBB2_113:                              ;   in Loop: Header=BB2_116 Depth=3
	s_or_b64 exec, exec, s[46:47]
	v_mov_b32_e32 v4, v9
.LBB2_114:                              ;   in Loop: Header=BB2_116 Depth=3
	s_or_b64 exec, exec, s[48:49]
.LBB2_115:                              ;   in Loop: Header=BB2_116 Depth=3
	s_or_b64 exec, exec, s[22:23]
	v_sub_u32_e32 v27, v27, v56
	v_lshlrev_b32_e32 v2, 16, v2
	v_and_b32_e32 v23, 0xffff, v3
	v_and_b32_e32 v5, 0xffff, v5
	v_lshlrev_b32_e32 v4, 16, v4
	v_or3_b32 v3, 0, 0, v7
	v_cmp_gt_i32_e32 vcc, 1, v27
	v_lshl_add_u64 v[0:1], v[56:57], 1, v[0:1]
	v_lshl_add_u64 v[8:9], v[42:43], 4, v[50:51]
	v_or3_b32 v2, v2, v23, v6
	v_or3_b32 v4, v4, v5, v6
	v_mov_b32_e32 v5, v3
	s_or_b64 s[44:45], vcc, s[44:45]
	v_add_u32_e32 v42, v42, v16
	global_store_dwordx4 v[8:9], v[2:5], off
	s_andn2_b64 exec, exec, s[44:45]
	s_cbranch_execz .LBB2_178
.LBB2_116:                              ;   Parent Loop BB2_21 Depth=1
                                        ;     Parent Loop BB2_70 Depth=2
                                        ; =>    This Loop Header: Depth=3
                                        ;         Child Loop BB2_124 Depth 4
	v_and_b32_e32 v2, -4, v0
	v_mov_b32_e32 v3, v1
	global_load_dword v23, v[2:3], off nt
	v_min_u32_e32 v4, 4, v27
	v_and_b32_e32 v46, 3, v0
	v_mov_b32_e32 v47, 0
	v_lshlrev_b32_e32 v54, 1, v4
	v_lshl_add_u64 v[4:5], v[46:47], 0, v[54:55]
	v_cmp_lt_u64_e32 vcc, 4, v[4:5]
	v_mov_b32_e32 v54, 0
	s_and_saveexec_b64 s[18:19], vcc
	s_cbranch_execz .LBB2_118
; %bb.117:                              ;   in Loop: Header=BB2_116 Depth=3
	global_load_dword v54, v[2:3], off offset:4 nt
.LBB2_118:                              ;   in Loop: Header=BB2_116 Depth=3
	s_or_b64 exec, exec, s[18:19]
	v_cmp_lt_u64_e32 vcc, 8, v[4:5]
	s_and_saveexec_b64 s[18:19], vcc
	s_cbranch_execz .LBB2_120
; %bb.119:                              ;   in Loop: Header=BB2_116 Depth=3
	global_load_dword v47, v[2:3], off offset:8 nt
.LBB2_120:                              ;   in Loop: Header=BB2_116 Depth=3
	s_or_b64 exec, exec, s[18:19]
	v_ashrrev_i32_e32 v43, 31, v42
	v_lshl_add_u64 v[8:9], v[42:43], 4, v[44:45]
	global_load_dwordx4 v[2:5], v[8:9], off nt
	v_cmp_eq_u32_e32 vcc, 0, v22
	s_and_saveexec_b64 s[20:21], vcc
	s_cbranch_execz .LBB2_132
; %bb.121:                              ;   in Loop: Header=BB2_116 Depth=3
	s_waitcnt vmcnt(0)
	v_cmp_ne_u32_e32 vcc, v26, v3
	v_cmp_ne_u32_e64 s[18:19], v26, v5
	s_or_b64 s[18:19], vcc, s[18:19]
	v_mov_b32_e32 v22, 0
	s_and_saveexec_b64 s[22:23], s[18:19]
	s_cbranch_execz .LBB2_131
; %bb.122:                              ;   in Loop: Header=BB2_116 Depth=3
	s_mov_b32 s50, 1
	s_mov_b64 s[46:47], 0
	v_mov_b32_e32 v22, 0
	s_branch .LBB2_124
.LBB2_123:                              ;   in Loop: Header=BB2_124 Depth=4
	s_or_b64 exec, exec, s[48:49]
	s_and_b64 s[18:19], exec, s[18:19]
	s_or_b64 s[46:47], s[18:19], s[46:47]
	s_andn2_b64 exec, exec, s[46:47]
	s_cbranch_execz .LBB2_130
.LBB2_124:                              ;   Parent Loop BB2_21 Depth=1
                                        ;     Parent Loop BB2_70 Depth=2
                                        ;       Parent Loop BB2_116 Depth=3
                                        ; =>      This Inner Loop Header: Depth=4
	global_load_dwordx4 v[2:5], v[8:9], off nt
	s_add_i32 s50, s50, 1
	s_cmpk_lg_i32 s50, 0x2710
	s_cbranch_scc1 .LBB2_128
; %bb.125:                              ;   in Loop: Header=BB2_124 Depth=4
	s_trap 2
	ds_read_b64 v[38:39], v0
	s_waitcnt vmcnt(0) lgkmcnt(0)
	flat_load_dword v46, v[38:39] sc0 sc1
	s_waitcnt vmcnt(0) lgkmcnt(0)
	buffer_inv sc0 sc1
	v_cmp_ne_u32_e32 vcc, 0, v46
	s_and_saveexec_b64 s[18:19], vcc
	s_cbranch_execz .LBB2_127
; %bb.126:                              ;   in Loop: Header=BB2_124 Depth=4
	v_mov_b32_e32 v22, 1
	ds_write_b32 v0, v46
	s_trap 2
.LBB2_127:                              ;   in Loop: Header=BB2_124 Depth=4
	s_or_b64 exec, exec, s[18:19]
	s_mov_b32 s50, 0
	v_mov_b32_e32 v46, v22
	v_cmp_eq_u32_e32 vcc, 0, v46
	s_mov_b64 s[18:19], -1
	s_and_saveexec_b64 s[48:49], vcc
	s_cbranch_execz .LBB2_123
	s_branch .LBB2_129
.LBB2_128:                              ;   in Loop: Header=BB2_124 Depth=4
	v_mov_b32_e32 v46, 0
	v_cmp_eq_u32_e32 vcc, 0, v46
	s_mov_b64 s[18:19], -1
	s_and_saveexec_b64 s[48:49], vcc
	s_cbranch_execz .LBB2_123
.LBB2_129:                              ;   in Loop: Header=BB2_124 Depth=4
	s_waitcnt vmcnt(0)
	v_cmp_eq_u32_e32 vcc, v26, v3
	v_cmp_eq_u32_e64 s[18:19], v26, v5
	s_and_b64 s[18:19], vcc, s[18:19]
	s_orn2_b64 s[18:19], s[18:19], exec
	s_branch .LBB2_123
.LBB2_130:                              ;   in Loop: Header=BB2_116 Depth=3
	s_or_b64 exec, exec, s[46:47]
.LBB2_131:                              ;   in Loop: Header=BB2_116 Depth=3
	s_or_b64 exec, exec, s[22:23]
.LBB2_132:                              ;   in Loop: Header=BB2_116 Depth=3
	s_or_b64 exec, exec, s[20:21]
	s_waitcnt vmcnt(0)
	v_lshlrev_b32_e32 v5, 3, v0
	v_alignbit_b32 v8, v54, v23, v5
	v_and_b32_e32 v3, 0x7fff, v2
	v_and_b32_e32 v9, 0x7fff, v8
	v_cmp_lt_u16_e32 vcc, s56, v3
	v_cmp_gt_u16_e64 s[18:19], s57, v9
	s_and_b64 s[20:21], s[18:19], vcc
	s_xor_b64 s[46:47], s[20:21], -1
                                        ; implicit-def: $vgpr3
	s_and_saveexec_b64 s[20:21], s[10:11]
	s_xor_b64 s[48:49], exec, s[20:21]
	s_cbranch_execz .LBB2_138
; %bb.133:                              ;   in Loop: Header=BB2_116 Depth=3
	v_mov_b32_e32 v3, v8
	s_and_saveexec_b64 s[50:51], s[46:47]
	s_cbranch_execz .LBB2_137
; %bb.134:                              ;   in Loop: Header=BB2_116 Depth=3
	s_or_b64 s[20:21], s[18:19], vcc
	v_mov_b32_e32 v3, v2
	s_and_saveexec_b64 s[52:53], s[20:21]
; %bb.135:                              ;   in Loop: Header=BB2_116 Depth=3
	v_cmp_lt_u16_e64 s[20:21], s56, v9
	v_cmp_gt_f16_e64 s[22:23], v2, v8
	s_and_b64 s[20:21], s[20:21], vcc
	s_nop 0
	v_cndmask_b32_e64 v3, v8, v2, s[22:23]
	v_cndmask_b32_e64 v3, v3, v62, s[20:21]
; %bb.136:                              ;   in Loop: Header=BB2_116 Depth=3
	s_or_b64 exec, exec, s[52:53]
.LBB2_137:                              ;   in Loop: Header=BB2_116 Depth=3
	s_or_b64 exec, exec, s[50:51]
                                        ; implicit-def: $vgpr9
.LBB2_138:                              ;   in Loop: Header=BB2_116 Depth=3
	s_andn2_saveexec_b64 s[22:23], s[48:49]
	s_cbranch_execz .LBB2_144
; %bb.139:                              ;   in Loop: Header=BB2_116 Depth=3
	v_mov_b32_e32 v3, v8
	s_and_saveexec_b64 s[48:49], s[46:47]
	s_cbranch_execz .LBB2_143
; %bb.140:                              ;   in Loop: Header=BB2_116 Depth=3
	s_or_b64 s[18:19], s[18:19], vcc
	v_mov_b32_e32 v3, v2
	s_and_saveexec_b64 s[46:47], s[18:19]
; %bb.141:                              ;   in Loop: Header=BB2_116 Depth=3
	v_cmp_lt_u16_e64 s[18:19], s56, v9
	v_cmp_gt_f16_e64 s[20:21], v2, v8
	s_and_b64 vcc, s[18:19], vcc
	s_nop 0
	v_cndmask_b32_e64 v3, v2, v8, s[20:21]
	v_cndmask_b32_e32 v3, v3, v62, vcc
; %bb.142:                              ;   in Loop: Header=BB2_116 Depth=3
	s_or_b64 exec, exec, s[46:47]
.LBB2_143:                              ;   in Loop: Header=BB2_116 Depth=3
	s_or_b64 exec, exec, s[48:49]
.LBB2_144:                              ;   in Loop: Header=BB2_116 Depth=3
	s_or_b64 exec, exec, s[22:23]
	v_lshrrev_b32_e32 v9, 16, v2
	v_lshrrev_b32_e32 v2, 16, v8
	v_and_b32_e32 v8, 0x7fff, v9
	v_cmp_lt_u16_e32 vcc, s56, v8
	v_and_b32_e32 v8, 0x7fff, v2
	v_cmp_gt_u16_e64 s[18:19], s57, v8
	s_and_b64 s[20:21], s[18:19], vcc
	s_xor_b64 s[46:47], s[20:21], -1
	s_and_saveexec_b64 s[20:21], s[10:11]
	s_xor_b64 s[48:49], exec, s[20:21]
	s_cbranch_execz .LBB2_150
; %bb.145:                              ;   in Loop: Header=BB2_116 Depth=3
	s_and_saveexec_b64 s[50:51], s[46:47]
	s_cbranch_execz .LBB2_149
; %bb.146:                              ;   in Loop: Header=BB2_116 Depth=3
	s_or_b64 s[20:21], s[18:19], vcc
	s_and_saveexec_b64 s[52:53], s[20:21]
; %bb.147:                              ;   in Loop: Header=BB2_116 Depth=3
	v_cmp_lt_u16_e64 s[20:21], s56, v8
	v_cmp_gt_f16_e64 s[22:23], v9, v2
	s_and_b64 s[20:21], s[20:21], vcc
	s_nop 0
	v_cndmask_b32_e64 v2, v2, v9, s[22:23]
	v_cndmask_b32_e64 v9, v2, v62, s[20:21]
; %bb.148:                              ;   in Loop: Header=BB2_116 Depth=3
	s_or_b64 exec, exec, s[52:53]
	v_mov_b32_e32 v2, v9
.LBB2_149:                              ;   in Loop: Header=BB2_116 Depth=3
	s_or_b64 exec, exec, s[50:51]
                                        ; implicit-def: $vgpr9
                                        ; implicit-def: $vgpr8
.LBB2_150:                              ;   in Loop: Header=BB2_116 Depth=3
	s_andn2_saveexec_b64 s[22:23], s[48:49]
	s_cbranch_execz .LBB2_156
; %bb.151:                              ;   in Loop: Header=BB2_116 Depth=3
	s_and_saveexec_b64 s[48:49], s[46:47]
	s_cbranch_execz .LBB2_155
; %bb.152:                              ;   in Loop: Header=BB2_116 Depth=3
	s_or_b64 s[18:19], s[18:19], vcc
	s_and_saveexec_b64 s[46:47], s[18:19]
; %bb.153:                              ;   in Loop: Header=BB2_116 Depth=3
	v_cmp_lt_u16_e64 s[18:19], s56, v8
	v_cmp_gt_f16_e64 s[20:21], v9, v2
	s_and_b64 vcc, s[18:19], vcc
	s_nop 0
	v_cndmask_b32_e64 v2, v9, v2, s[20:21]
	v_cndmask_b32_e32 v9, v2, v62, vcc
; %bb.154:                              ;   in Loop: Header=BB2_116 Depth=3
	s_or_b64 exec, exec, s[46:47]
	v_mov_b32_e32 v2, v9
.LBB2_155:                              ;   in Loop: Header=BB2_116 Depth=3
	s_or_b64 exec, exec, s[48:49]
.LBB2_156:                              ;   in Loop: Header=BB2_116 Depth=3
	s_or_b64 exec, exec, s[22:23]
	v_alignbit_b32 v8, v47, v54, v5
	v_and_b32_e32 v5, 0x7fff, v4
	v_and_b32_e32 v9, 0x7fff, v8
	v_cmp_lt_u16_e32 vcc, s56, v5
	v_cmp_gt_u16_e64 s[18:19], s57, v9
	s_and_b64 s[20:21], s[18:19], vcc
	s_xor_b64 s[46:47], s[20:21], -1
                                        ; implicit-def: $vgpr5
	s_and_saveexec_b64 s[20:21], s[10:11]
	s_xor_b64 s[48:49], exec, s[20:21]
	s_cbranch_execz .LBB2_162
; %bb.157:                              ;   in Loop: Header=BB2_116 Depth=3
	v_mov_b32_e32 v5, v8
	s_and_saveexec_b64 s[50:51], s[46:47]
	s_cbranch_execz .LBB2_161
; %bb.158:                              ;   in Loop: Header=BB2_116 Depth=3
	s_or_b64 s[20:21], s[18:19], vcc
	v_mov_b32_e32 v5, v4
	s_and_saveexec_b64 s[52:53], s[20:21]
; %bb.159:                              ;   in Loop: Header=BB2_116 Depth=3
	v_cmp_lt_u16_e64 s[20:21], s56, v9
	v_cmp_gt_f16_e64 s[22:23], v4, v8
	s_and_b64 s[20:21], s[20:21], vcc
	s_nop 0
	v_cndmask_b32_e64 v5, v8, v4, s[22:23]
	v_cndmask_b32_e64 v5, v5, v62, s[20:21]
; %bb.160:                              ;   in Loop: Header=BB2_116 Depth=3
	s_or_b64 exec, exec, s[52:53]
.LBB2_161:                              ;   in Loop: Header=BB2_116 Depth=3
	s_or_b64 exec, exec, s[50:51]
                                        ; implicit-def: $vgpr9
.LBB2_162:                              ;   in Loop: Header=BB2_116 Depth=3
	s_andn2_saveexec_b64 s[22:23], s[48:49]
	s_cbranch_execz .LBB2_168
; %bb.163:                              ;   in Loop: Header=BB2_116 Depth=3
	v_mov_b32_e32 v5, v8
	s_and_saveexec_b64 s[48:49], s[46:47]
	s_cbranch_execz .LBB2_167
; %bb.164:                              ;   in Loop: Header=BB2_116 Depth=3
	s_or_b64 s[18:19], s[18:19], vcc
	v_mov_b32_e32 v5, v4
	s_and_saveexec_b64 s[46:47], s[18:19]
; %bb.165:                              ;   in Loop: Header=BB2_116 Depth=3
	v_cmp_lt_u16_e64 s[18:19], s56, v9
	v_cmp_gt_f16_e64 s[20:21], v4, v8
	s_and_b64 vcc, s[18:19], vcc
	s_nop 0
	v_cndmask_b32_e64 v5, v4, v8, s[20:21]
	v_cndmask_b32_e32 v5, v5, v62, vcc
; %bb.166:                              ;   in Loop: Header=BB2_116 Depth=3
	s_or_b64 exec, exec, s[46:47]
.LBB2_167:                              ;   in Loop: Header=BB2_116 Depth=3
	s_or_b64 exec, exec, s[48:49]
.LBB2_168:                              ;   in Loop: Header=BB2_116 Depth=3
	s_or_b64 exec, exec, s[22:23]
	v_lshrrev_b32_e32 v9, 16, v4
	v_lshrrev_b32_e32 v4, 16, v8
	v_and_b32_e32 v8, 0x7fff, v9
	v_cmp_lt_u16_e32 vcc, s56, v8
	v_and_b32_e32 v8, 0x7fff, v4
	v_cmp_gt_u16_e64 s[18:19], s57, v8
	s_and_b64 s[20:21], vcc, s[18:19]
	s_xor_b64 s[46:47], s[20:21], -1
	s_and_saveexec_b64 s[20:21], s[10:11]
	s_xor_b64 s[48:49], exec, s[20:21]
	s_cbranch_execz .LBB2_174
; %bb.169:                              ;   in Loop: Header=BB2_116 Depth=3
	s_and_saveexec_b64 s[50:51], s[46:47]
	s_cbranch_execz .LBB2_173
; %bb.170:                              ;   in Loop: Header=BB2_116 Depth=3
	s_or_b64 s[20:21], vcc, s[18:19]
	s_and_saveexec_b64 s[52:53], s[20:21]
; %bb.171:                              ;   in Loop: Header=BB2_116 Depth=3
	v_cmp_lt_u16_e64 s[20:21], s56, v8
	v_cmp_gt_f16_e64 s[22:23], v9, v4
	s_and_b64 s[20:21], vcc, s[20:21]
	s_nop 0
	v_cndmask_b32_e64 v4, v4, v9, s[22:23]
	v_cndmask_b32_e64 v9, v4, v62, s[20:21]
; %bb.172:                              ;   in Loop: Header=BB2_116 Depth=3
	s_or_b64 exec, exec, s[52:53]
	v_mov_b32_e32 v4, v9
.LBB2_173:                              ;   in Loop: Header=BB2_116 Depth=3
	s_or_b64 exec, exec, s[50:51]
                                        ; implicit-def: $vgpr9
                                        ; implicit-def: $vgpr8
.LBB2_174:                              ;   in Loop: Header=BB2_116 Depth=3
	s_andn2_saveexec_b64 s[22:23], s[48:49]
	s_cbranch_execz .LBB2_115
; %bb.175:                              ;   in Loop: Header=BB2_116 Depth=3
	s_and_saveexec_b64 s[48:49], s[46:47]
	s_cbranch_execz .LBB2_114
; %bb.176:                              ;   in Loop: Header=BB2_116 Depth=3
	s_or_b64 s[18:19], vcc, s[18:19]
	s_and_saveexec_b64 s[46:47], s[18:19]
	s_cbranch_execz .LBB2_113
; %bb.177:                              ;   in Loop: Header=BB2_116 Depth=3
	v_cmp_lt_u16_e64 s[18:19], s56, v8
	v_cmp_gt_f16_e64 s[20:21], v9, v4
	s_and_b64 vcc, vcc, s[18:19]
	s_nop 0
	v_cndmask_b32_e64 v4, v9, v4, s[20:21]
	v_cndmask_b32_e32 v9, v4, v62, vcc
	s_branch .LBB2_113
.LBB2_178:                              ;   in Loop: Header=BB2_70 Depth=2
	s_or_b64 exec, exec, s[44:45]
	v_accvgpr_read_b32 v6, a6
	v_accvgpr_read_b32 v7, a7
	s_or_b64 exec, exec, s[42:43]
	s_and_saveexec_b64 s[18:19], s[6:7]
	s_cbranch_execz .LBB2_74
.LBB2_179:                              ;   in Loop: Header=BB2_70 Depth=2
	s_and_saveexec_b64 s[20:21], s[36:37]
	s_xor_b64 s[20:21], exec, s[20:21]
	s_cbranch_execz .LBB2_194
; %bb.180:                              ;   in Loop: Header=BB2_70 Depth=2
	s_and_saveexec_b64 s[22:23], s[8:9]
	s_cbranch_execz .LBB2_193
; %bb.181:                              ;   in Loop: Header=BB2_70 Depth=2
	s_mov_b64 s[44:45], exec
	v_mbcnt_lo_u32_b32 v0, s44, 0
	v_mbcnt_hi_u32_b32 v0, s45, v0
	v_cmp_eq_u32_e32 vcc, 0, v0
	s_waitcnt lgkmcnt(0)
	s_and_saveexec_b64 s[42:43], vcc
	s_cbranch_execz .LBB2_183
; %bb.182:                              ;   in Loop: Header=BB2_70 Depth=2
	s_bcnt1_i32_b64 vcc_lo, s[44:45]
	v_mov_b32_e32 v54, vcc_lo
	ds_add_u64 v0, v[54:55]
	s_trap 2
.LBB2_183:                              ;   in Loop: Header=BB2_70 Depth=2
	s_or_b64 exec, exec, s[42:43]
	s_trap 2
	ds_read_b64 v[0:1], v0
	s_waitcnt vmcnt(0)
	v_accvgpr_read_b32 v2, a20
	v_accvgpr_read_b32 v3, a21
	v_lshl_add_u64 v[52:53], v[52:53], 0, v[2:3]
	s_waitcnt lgkmcnt(0)
	v_cmp_lt_u64_e32 vcc, v[0:1], v[52:53]
	s_and_saveexec_b64 s[42:43], vcc
	s_cbranch_execz .LBB2_192
; %bb.184:                              ;   in Loop: Header=BB2_70 Depth=2
	s_mov_b32 s59, 0
	s_mov_b64 s[44:45], 0
                                        ; implicit-def: $sgpr46_sgpr47
                                        ; implicit-def: $sgpr48_sgpr49
	s_branch .LBB2_186
.LBB2_185:                              ;   in Loop: Header=BB2_186 Depth=3
	s_or_b64 exec, exec, s[52:53]
	s_and_b64 vcc, exec, vcc
	s_or_b64 s[44:45], vcc, s[44:45]
	s_andn2_b64 vcc, s[46:47], exec
	s_and_b64 s[46:47], s[48:49], exec
	s_or_b64 s[46:47], vcc, s[46:47]
	s_andn2_b64 exec, exec, s[44:45]
	s_cbranch_execz .LBB2_190
.LBB2_186:                              ;   Parent Loop BB2_21 Depth=1
                                        ;     Parent Loop BB2_70 Depth=2
                                        ; =>    This Inner Loop Header: Depth=3
	s_add_i32 s59, s59, 1
	s_cmpk_lg_i32 s59, 0x2710
	s_cselect_b64 s[50:51], -1, 0
	s_and_b64 vcc, exec, s[50:51]
                                        ; implicit-def: $sgpr52_sgpr53
	s_cbranch_vccnz .LBB2_188
; %bb.187:                              ;   in Loop: Header=BB2_186 Depth=3
	s_trap 2
	ds_read_b64 v[0:1], v0
	s_andn2_b64 s[50:51], s[50:51], exec
	s_mov_b32 s59, 0
	s_mov_b64 s[52:53], -1
	s_waitcnt lgkmcnt(0)
	flat_load_dword v0, v[0:1] sc0 sc1
	s_waitcnt vmcnt(0) lgkmcnt(0)
	buffer_inv sc0 sc1
	v_cmp_eq_u32_e32 vcc, 0, v0
	s_and_b64 vcc, vcc, exec
	s_or_b64 s[50:51], s[50:51], vcc
.LBB2_188:                              ;   in Loop: Header=BB2_186 Depth=3
	s_andn2_b64 s[48:49], s[48:49], exec
	s_and_b64 s[52:53], s[52:53], exec
	s_mov_b64 vcc, -1
	s_or_b64 s[48:49], s[48:49], s[52:53]
	s_and_saveexec_b64 s[52:53], s[50:51]
	s_cbranch_execz .LBB2_185
; %bb.189:                              ;   in Loop: Header=BB2_186 Depth=3
	s_sleep 1
	s_trap 2
	ds_read_b64 v[0:1], v0
	s_andn2_b64 s[48:49], s[48:49], exec
	s_waitcnt lgkmcnt(0)
	v_cmp_ge_u64_e32 vcc, v[0:1], v[52:53]
	s_orn2_b64 vcc, vcc, exec
	s_branch .LBB2_185
.LBB2_190:                              ;   in Loop: Header=BB2_70 Depth=2
	s_or_b64 exec, exec, s[44:45]
	s_and_saveexec_b64 vcc, s[46:47]
	s_xor_b64 vcc, exec, vcc
	s_cbranch_execz .LBB2_192
; %bb.191:                              ;   in Loop: Header=BB2_70 Depth=2
	v_mov_b32_e32 v0, 1
	ds_write_b32 v0, v0
	s_trap 2
.LBB2_192:                              ;   in Loop: Header=BB2_70 Depth=2
	s_or_b64 exec, exec, s[42:43]
	;;#ASMSTART
	s_wakeup
	;;#ASMEND
.LBB2_193:                              ;   in Loop: Header=BB2_70 Depth=2
	s_or_b64 exec, exec, s[22:23]
.LBB2_194:                              ;   in Loop: Header=BB2_70 Depth=2
	s_andn2_saveexec_b64 s[20:21], s[20:21]
	s_cbranch_execz .LBB2_196
; %bb.195:                              ;   in Loop: Header=BB2_70 Depth=2
	s_waitcnt lgkmcnt(0)
	s_barrier
.LBB2_196:                              ;   in Loop: Header=BB2_70 Depth=2
	s_or_b64 exec, exec, s[20:21]
	s_or_b64 exec, exec, s[18:19]
	s_and_saveexec_b64 s[18:19], s[12:13]
	s_cbranch_execnz .LBB2_75
	s_branch .LBB2_76
.LBB2_197:                              ;   in Loop: Header=BB2_21 Depth=1
	v_mov_b64_e32 v[42:43], v[30:31]
	s_and_saveexec_b64 s[22:23], s[16:17]
	s_cbranch_execnz .LBB2_199
	s_branch .LBB2_276
.LBB2_198:                              ;   in Loop: Header=BB2_21 Depth=1
	s_waitcnt vmcnt(0) lgkmcnt(0)
	v_accvgpr_read_b32 v2, a42
	v_mov_b64_e32 v[42:43], v[30:31]
	v_accvgpr_read_b32 v3, a43
	s_and_saveexec_b64 s[22:23], s[16:17]
	s_cbranch_execz .LBB2_276
.LBB2_199:                              ;   in Loop: Header=BB2_21 Depth=1
	flat_load_dword v4, v[18:19]
	v_lshlrev_b64 v[0:1], 1, v[2:3]
	v_accvgpr_read_b32 v2, a8
	v_accvgpr_read_b32 v6, a26
	v_and_b32_e32 v5, 7, v28
	v_accvgpr_read_b32 v3, a9
	v_accvgpr_read_b32 v7, a27
	v_lshl_add_u64 v[2:3], v[2:3], 0, v[0:1]
	v_lshl_add_u64 v[20:21], v[6:7], 0, v[0:1]
	v_mul_lo_u32 v0, v5, s54
	v_accvgpr_read_b32 v6, a14
	v_ashrrev_i32_e32 v1, 31, v0
	v_accvgpr_read_b32 v7, a15
	v_lshl_add_u64 v[30:31], v[0:1], 4, v[6:7]
	v_add_u32_e32 v8, 1, v28
	s_mov_b64 s[42:43], 0
	s_waitcnt vmcnt(0) lgkmcnt(0)
	v_ashrrev_i32_e32 v5, 31, v4
	v_mul_lo_u32 v6, v41, v4
	v_mad_u64_u32 v[0:1], s[16:17], v40, v4, 0
	v_mul_lo_u32 v4, v40, v5
	v_add3_u32 v1, v1, v4, v6
	v_lshl_add_u64 v[0:1], v[0:1], 1, v[2:3]
	v_accvgpr_read_b32 v2, a22
	v_accvgpr_read_b32 v3, a23
	v_lshl_add_u64 v[46:47], v[2:3], 1, v[0:1]
	v_mov_b32_e32 v0, v24
	s_branch .LBB2_201
.LBB2_200:                              ;   in Loop: Header=BB2_201 Depth=2
	v_sub_u32_e32 v17, v17, v56
	v_cmp_gt_i32_e32 vcc, 1, v17
	v_lshl_add_u64 v[46:47], v[46:47], 0, v[60:61]
	v_lshl_add_u64 v[20:21], v[20:21], 0, v[60:61]
	s_or_b64 s[42:43], vcc, s[42:43]
	v_add_u32_e32 v0, v0, v16
	s_andn2_b64 exec, exec, s[42:43]
	s_cbranch_execz .LBB2_275
.LBB2_201:                              ;   Parent Loop BB2_21 Depth=1
                                        ; =>  This Loop Header: Depth=2
                                        ;       Child Loop BB2_209 Depth 3
	v_and_b32_e32 v2, -4, v46
	v_mov_b32_e32 v3, v47
	global_load_dword v9, v[2:3], off nt
	v_min_u32_e32 v1, 4, v17
	v_and_b32_e32 v6, 3, v46
	v_mov_b32_e32 v7, 0
	v_lshlrev_b32_e32 v54, 1, v1
	v_lshl_add_u64 v[4:5], v[6:7], 0, v[54:55]
	v_cmp_lt_u64_e32 vcc, 4, v[4:5]
	v_mov_b32_e32 v6, 0
	s_and_saveexec_b64 s[16:17], vcc
	s_cbranch_execz .LBB2_203
; %bb.202:                              ;   in Loop: Header=BB2_201 Depth=2
	global_load_dword v6, v[2:3], off offset:4 nt
.LBB2_203:                              ;   in Loop: Header=BB2_201 Depth=2
	s_or_b64 exec, exec, s[16:17]
	v_cmp_lt_u64_e32 vcc, 8, v[4:5]
	s_and_saveexec_b64 s[16:17], vcc
	s_cbranch_execz .LBB2_205
; %bb.204:                              ;   in Loop: Header=BB2_201 Depth=2
	global_load_dword v7, v[2:3], off offset:8 nt
.LBB2_205:                              ;   in Loop: Header=BB2_201 Depth=2
	s_or_b64 exec, exec, s[16:17]
	v_ashrrev_i32_e32 v1, 31, v0
	v_lshl_add_u64 v[50:51], v[0:1], 4, v[30:31]
	global_load_dwordx4 v[2:5], v[50:51], off nt
	v_cmp_eq_u32_e32 vcc, 0, v22
	s_and_saveexec_b64 s[18:19], vcc
	s_cbranch_execz .LBB2_217
; %bb.206:                              ;   in Loop: Header=BB2_201 Depth=2
	s_waitcnt vmcnt(0)
	v_cmp_ne_u32_e32 vcc, v8, v3
	v_cmp_ne_u32_e64 s[16:17], v8, v5
	s_or_b64 s[16:17], vcc, s[16:17]
	v_mov_b32_e32 v22, 0
	s_and_saveexec_b64 s[20:21], s[16:17]
	s_cbranch_execz .LBB2_216
; %bb.207:                              ;   in Loop: Header=BB2_201 Depth=2
	s_mov_b32 s48, 1
	s_mov_b64 s[44:45], 0
	v_mov_b32_e32 v22, 0
	s_branch .LBB2_209
.LBB2_208:                              ;   in Loop: Header=BB2_209 Depth=3
	s_or_b64 exec, exec, s[46:47]
	s_and_b64 s[16:17], exec, s[16:17]
	s_or_b64 s[44:45], s[16:17], s[44:45]
	s_andn2_b64 exec, exec, s[44:45]
	s_cbranch_execz .LBB2_215
.LBB2_209:                              ;   Parent Loop BB2_21 Depth=1
                                        ;     Parent Loop BB2_201 Depth=2
                                        ; =>    This Inner Loop Header: Depth=3
	global_load_dwordx4 v[2:5], v[50:51], off nt
	s_add_i32 s48, s48, 1
	s_cmpk_lg_i32 s48, 0x2710
	s_cbranch_scc1 .LBB2_213
; %bb.210:                              ;   in Loop: Header=BB2_209 Depth=3
	s_trap 2
	ds_read_b64 v[26:27], v0
	s_waitcnt vmcnt(0) lgkmcnt(0)
	flat_load_dword v1, v[26:27] sc0 sc1
	s_waitcnt vmcnt(0) lgkmcnt(0)
	buffer_inv sc0 sc1
	v_cmp_ne_u32_e32 vcc, 0, v1
	s_and_saveexec_b64 s[16:17], vcc
	s_cbranch_execz .LBB2_212
; %bb.211:                              ;   in Loop: Header=BB2_209 Depth=3
	v_mov_b32_e32 v22, 1
	ds_write_b32 v0, v1
	s_trap 2
.LBB2_212:                              ;   in Loop: Header=BB2_209 Depth=3
	s_or_b64 exec, exec, s[16:17]
	s_mov_b32 s48, 0
	v_mov_b32_e32 v1, v22
	v_cmp_eq_u32_e32 vcc, 0, v1
	s_mov_b64 s[16:17], -1
	s_and_saveexec_b64 s[46:47], vcc
	s_cbranch_execz .LBB2_208
	s_branch .LBB2_214
.LBB2_213:                              ;   in Loop: Header=BB2_209 Depth=3
	v_mov_b32_e32 v1, 0
	v_cmp_eq_u32_e32 vcc, 0, v1
	s_mov_b64 s[16:17], -1
	s_and_saveexec_b64 s[46:47], vcc
	s_cbranch_execz .LBB2_208
.LBB2_214:                              ;   in Loop: Header=BB2_209 Depth=3
	s_waitcnt vmcnt(0)
	v_cmp_eq_u32_e32 vcc, v8, v3
	v_cmp_eq_u32_e64 s[16:17], v8, v5
	s_and_b64 s[16:17], vcc, s[16:17]
	s_orn2_b64 s[16:17], s[16:17], exec
	s_branch .LBB2_208
.LBB2_215:                              ;   in Loop: Header=BB2_201 Depth=2
	s_or_b64 exec, exec, s[44:45]
.LBB2_216:                              ;   in Loop: Header=BB2_201 Depth=2
	s_or_b64 exec, exec, s[20:21]
.LBB2_217:                              ;   in Loop: Header=BB2_201 Depth=2
	s_or_b64 exec, exec, s[18:19]
	s_waitcnt vmcnt(0)
	v_lshlrev_b32_e32 v3, 3, v46
	v_alignbit_b32 v5, v6, v9, v3
	v_and_b32_e32 v1, 0x7fff, v2
	v_and_b32_e32 v9, 0x7fff, v5
	v_cmp_lt_u16_e32 vcc, s56, v1
	v_cmp_gt_u16_e64 s[16:17], s57, v9
	s_and_b64 s[18:19], s[16:17], vcc
	s_xor_b64 s[44:45], s[18:19], -1
                                        ; implicit-def: $vgpr1
	s_and_saveexec_b64 s[18:19], s[10:11]
	s_xor_b64 s[46:47], exec, s[18:19]
	s_cbranch_execz .LBB2_223
; %bb.218:                              ;   in Loop: Header=BB2_201 Depth=2
	v_mov_b32_e32 v1, v5
	s_and_saveexec_b64 s[48:49], s[44:45]
	s_cbranch_execz .LBB2_222
; %bb.219:                              ;   in Loop: Header=BB2_201 Depth=2
	s_or_b64 s[18:19], s[16:17], vcc
	v_mov_b32_e32 v1, v2
	s_and_saveexec_b64 s[50:51], s[18:19]
; %bb.220:                              ;   in Loop: Header=BB2_201 Depth=2
	v_cmp_lt_u16_e64 s[18:19], s56, v9
	v_cmp_gt_f16_e64 s[20:21], v2, v5
	s_and_b64 s[18:19], s[18:19], vcc
	s_nop 0
	v_cndmask_b32_e64 v1, v5, v2, s[20:21]
	v_cndmask_b32_e64 v1, v1, v62, s[18:19]
; %bb.221:                              ;   in Loop: Header=BB2_201 Depth=2
	s_or_b64 exec, exec, s[50:51]
.LBB2_222:                              ;   in Loop: Header=BB2_201 Depth=2
	s_or_b64 exec, exec, s[48:49]
                                        ; implicit-def: $vgpr9
.LBB2_223:                              ;   in Loop: Header=BB2_201 Depth=2
	s_andn2_saveexec_b64 s[20:21], s[46:47]
	s_cbranch_execz .LBB2_229
; %bb.224:                              ;   in Loop: Header=BB2_201 Depth=2
	v_mov_b32_e32 v1, v5
	s_and_saveexec_b64 s[46:47], s[44:45]
	s_cbranch_execz .LBB2_228
; %bb.225:                              ;   in Loop: Header=BB2_201 Depth=2
	s_or_b64 s[16:17], s[16:17], vcc
	v_mov_b32_e32 v1, v2
	s_and_saveexec_b64 s[44:45], s[16:17]
; %bb.226:                              ;   in Loop: Header=BB2_201 Depth=2
	v_cmp_lt_u16_e64 s[16:17], s56, v9
	v_cmp_gt_f16_e64 s[18:19], v2, v5
	s_and_b64 vcc, s[16:17], vcc
	s_nop 0
	v_cndmask_b32_e64 v1, v2, v5, s[18:19]
	v_cndmask_b32_e32 v1, v1, v62, vcc
; %bb.227:                              ;   in Loop: Header=BB2_201 Depth=2
	s_or_b64 exec, exec, s[44:45]
.LBB2_228:                              ;   in Loop: Header=BB2_201 Depth=2
	s_or_b64 exec, exec, s[46:47]
.LBB2_229:                              ;   in Loop: Header=BB2_201 Depth=2
	s_or_b64 exec, exec, s[20:21]
	v_lshrrev_b32_e32 v9, 16, v2
	v_lshrrev_b32_e32 v2, 16, v5
	v_and_b32_e32 v5, 0x7fff, v9
	v_cmp_lt_u16_e32 vcc, s56, v5
	v_and_b32_e32 v5, 0x7fff, v2
	v_cmp_gt_u16_e64 s[16:17], s57, v5
	s_and_b64 s[18:19], s[16:17], vcc
	s_xor_b64 s[44:45], s[18:19], -1
	s_and_saveexec_b64 s[18:19], s[10:11]
	s_xor_b64 s[46:47], exec, s[18:19]
	s_cbranch_execz .LBB2_235
; %bb.230:                              ;   in Loop: Header=BB2_201 Depth=2
	s_and_saveexec_b64 s[48:49], s[44:45]
	s_cbranch_execz .LBB2_234
; %bb.231:                              ;   in Loop: Header=BB2_201 Depth=2
	s_or_b64 s[18:19], s[16:17], vcc
	s_and_saveexec_b64 s[50:51], s[18:19]
; %bb.232:                              ;   in Loop: Header=BB2_201 Depth=2
	v_cmp_lt_u16_e64 s[18:19], s56, v5
	v_cmp_gt_f16_e64 s[20:21], v9, v2
	s_and_b64 s[18:19], s[18:19], vcc
	s_nop 0
	v_cndmask_b32_e64 v2, v2, v9, s[20:21]
	v_cndmask_b32_e64 v9, v2, v62, s[18:19]
; %bb.233:                              ;   in Loop: Header=BB2_201 Depth=2
	s_or_b64 exec, exec, s[50:51]
	v_mov_b32_e32 v2, v9
.LBB2_234:                              ;   in Loop: Header=BB2_201 Depth=2
	s_or_b64 exec, exec, s[48:49]
                                        ; implicit-def: $vgpr9
                                        ; implicit-def: $vgpr5
.LBB2_235:                              ;   in Loop: Header=BB2_201 Depth=2
	s_andn2_saveexec_b64 s[20:21], s[46:47]
	s_cbranch_execz .LBB2_241
; %bb.236:                              ;   in Loop: Header=BB2_201 Depth=2
	s_and_saveexec_b64 s[46:47], s[44:45]
	s_cbranch_execz .LBB2_240
; %bb.237:                              ;   in Loop: Header=BB2_201 Depth=2
	s_or_b64 s[16:17], s[16:17], vcc
	s_and_saveexec_b64 s[44:45], s[16:17]
; %bb.238:                              ;   in Loop: Header=BB2_201 Depth=2
	v_cmp_lt_u16_e64 s[16:17], s56, v5
	v_cmp_gt_f16_e64 s[18:19], v9, v2
	s_and_b64 vcc, s[16:17], vcc
	s_nop 0
	v_cndmask_b32_e64 v2, v9, v2, s[18:19]
	v_cndmask_b32_e32 v9, v2, v62, vcc
; %bb.239:                              ;   in Loop: Header=BB2_201 Depth=2
	s_or_b64 exec, exec, s[44:45]
	v_mov_b32_e32 v2, v9
.LBB2_240:                              ;   in Loop: Header=BB2_201 Depth=2
	s_or_b64 exec, exec, s[46:47]
.LBB2_241:                              ;   in Loop: Header=BB2_201 Depth=2
	s_or_b64 exec, exec, s[20:21]
	v_alignbit_b32 v5, v7, v6, v3
	v_and_b32_e32 v3, 0x7fff, v4
	v_and_b32_e32 v6, 0x7fff, v5
	v_cmp_lt_u16_e32 vcc, s56, v3
	v_cmp_gt_u16_e64 s[16:17], s57, v6
	s_and_b64 s[18:19], s[16:17], vcc
	s_xor_b64 s[44:45], s[18:19], -1
                                        ; implicit-def: $vgpr3
	s_and_saveexec_b64 s[18:19], s[10:11]
	s_xor_b64 s[46:47], exec, s[18:19]
	s_cbranch_execz .LBB2_247
; %bb.242:                              ;   in Loop: Header=BB2_201 Depth=2
	v_mov_b32_e32 v3, v5
	s_and_saveexec_b64 s[48:49], s[44:45]
	s_cbranch_execz .LBB2_246
; %bb.243:                              ;   in Loop: Header=BB2_201 Depth=2
	s_or_b64 s[18:19], s[16:17], vcc
	v_mov_b32_e32 v3, v4
	s_and_saveexec_b64 s[50:51], s[18:19]
; %bb.244:                              ;   in Loop: Header=BB2_201 Depth=2
	v_cmp_lt_u16_e64 s[18:19], s56, v6
	v_cmp_gt_f16_e64 s[20:21], v4, v5
	s_and_b64 s[18:19], s[18:19], vcc
	s_nop 0
	v_cndmask_b32_e64 v3, v5, v4, s[20:21]
	v_cndmask_b32_e64 v3, v3, v62, s[18:19]
; %bb.245:                              ;   in Loop: Header=BB2_201 Depth=2
	s_or_b64 exec, exec, s[50:51]
.LBB2_246:                              ;   in Loop: Header=BB2_201 Depth=2
	s_or_b64 exec, exec, s[48:49]
                                        ; implicit-def: $vgpr6
.LBB2_247:                              ;   in Loop: Header=BB2_201 Depth=2
	s_andn2_saveexec_b64 s[20:21], s[46:47]
	s_cbranch_execz .LBB2_253
; %bb.248:                              ;   in Loop: Header=BB2_201 Depth=2
	v_mov_b32_e32 v3, v5
	s_and_saveexec_b64 s[46:47], s[44:45]
	s_cbranch_execz .LBB2_252
; %bb.249:                              ;   in Loop: Header=BB2_201 Depth=2
	s_or_b64 s[16:17], s[16:17], vcc
	v_mov_b32_e32 v3, v4
	s_and_saveexec_b64 s[44:45], s[16:17]
; %bb.250:                              ;   in Loop: Header=BB2_201 Depth=2
	v_cmp_lt_u16_e64 s[16:17], s56, v6
	v_cmp_gt_f16_e64 s[18:19], v4, v5
	s_and_b64 vcc, s[16:17], vcc
	s_nop 0
	v_cndmask_b32_e64 v3, v4, v5, s[18:19]
	v_cndmask_b32_e32 v3, v3, v62, vcc
; %bb.251:                              ;   in Loop: Header=BB2_201 Depth=2
	s_or_b64 exec, exec, s[44:45]
.LBB2_252:                              ;   in Loop: Header=BB2_201 Depth=2
	s_or_b64 exec, exec, s[46:47]
.LBB2_253:                              ;   in Loop: Header=BB2_201 Depth=2
	s_or_b64 exec, exec, s[20:21]
	v_lshrrev_b32_e32 v6, 16, v4
	v_lshrrev_b32_e32 v4, 16, v5
	v_and_b32_e32 v5, 0x7fff, v6
	v_cmp_lt_u16_e32 vcc, s56, v5
	v_and_b32_e32 v5, 0x7fff, v4
	v_cmp_gt_u16_e64 s[16:17], s57, v5
	s_and_b64 s[18:19], vcc, s[16:17]
	s_xor_b64 s[44:45], s[18:19], -1
	s_and_saveexec_b64 s[18:19], s[10:11]
	s_xor_b64 s[46:47], exec, s[18:19]
	s_cbranch_execz .LBB2_259
; %bb.254:                              ;   in Loop: Header=BB2_201 Depth=2
	s_and_saveexec_b64 s[48:49], s[44:45]
	s_cbranch_execz .LBB2_258
; %bb.255:                              ;   in Loop: Header=BB2_201 Depth=2
	s_or_b64 s[18:19], vcc, s[16:17]
	s_and_saveexec_b64 s[50:51], s[18:19]
; %bb.256:                              ;   in Loop: Header=BB2_201 Depth=2
	v_cmp_lt_u16_e64 s[18:19], s56, v5
	v_cmp_gt_f16_e64 s[20:21], v6, v4
	s_and_b64 s[18:19], vcc, s[18:19]
	s_nop 0
	v_cndmask_b32_e64 v4, v4, v6, s[20:21]
	v_cndmask_b32_e64 v6, v4, v62, s[18:19]
; %bb.257:                              ;   in Loop: Header=BB2_201 Depth=2
	s_or_b64 exec, exec, s[50:51]
	v_mov_b32_e32 v4, v6
.LBB2_258:                              ;   in Loop: Header=BB2_201 Depth=2
	s_or_b64 exec, exec, s[48:49]
                                        ; implicit-def: $vgpr6
                                        ; implicit-def: $vgpr5
.LBB2_259:                              ;   in Loop: Header=BB2_201 Depth=2
	s_andn2_saveexec_b64 s[20:21], s[46:47]
	s_cbranch_execz .LBB2_265
; %bb.260:                              ;   in Loop: Header=BB2_201 Depth=2
	s_and_saveexec_b64 s[46:47], s[44:45]
	s_cbranch_execz .LBB2_264
; %bb.261:                              ;   in Loop: Header=BB2_201 Depth=2
	s_or_b64 s[16:17], vcc, s[16:17]
	s_and_saveexec_b64 s[44:45], s[16:17]
; %bb.262:                              ;   in Loop: Header=BB2_201 Depth=2
	v_cmp_lt_u16_e64 s[16:17], s56, v5
	v_cmp_gt_f16_e64 s[18:19], v6, v4
	s_and_b64 vcc, vcc, s[16:17]
	s_nop 0
	v_cndmask_b32_e64 v4, v6, v4, s[18:19]
	v_cndmask_b32_e32 v6, v4, v62, vcc
; %bb.263:                              ;   in Loop: Header=BB2_201 Depth=2
	s_or_b64 exec, exec, s[44:45]
	v_mov_b32_e32 v4, v6
.LBB2_264:                              ;   in Loop: Header=BB2_201 Depth=2
	s_or_b64 exec, exec, s[46:47]
.LBB2_265:                              ;   in Loop: Header=BB2_201 Depth=2
	s_or_b64 exec, exec, s[20:21]
	v_cmp_lt_u32_e32 vcc, 3, v17
	s_and_b64 s[16:17], s[14:15], vcc
	v_cndmask_b32_e64 v5, 0, 1, s[16:17]
	;;#ASMSTART
	;;#ASMEND
	s_nop 0
	v_cmp_ne_u32_e64 s[16:17], 0, v5
	s_cmp_lg_u64 s[16:17], exec
	s_mov_b64 s[16:17], -1
	s_cbranch_scc0 .LBB2_271
; %bb.266:                              ;   in Loop: Header=BB2_201 Depth=2
	v_cmp_ne_u32_e64 s[16:17], 1, v17
	flat_store_short v[20:21], v1
	s_and_saveexec_b64 s[18:19], s[16:17]
	s_cbranch_execnz .LBB2_273
; %bb.267:                              ;   in Loop: Header=BB2_201 Depth=2
	s_or_b64 exec, exec, s[18:19]
	v_cmp_lt_u32_e64 s[16:17], 2, v17
	s_and_saveexec_b64 s[18:19], s[16:17]
	s_cbranch_execnz .LBB2_274
.LBB2_268:                              ;   in Loop: Header=BB2_201 Depth=2
	s_or_b64 exec, exec, s[18:19]
	s_and_saveexec_b64 s[16:17], vcc
	s_cbranch_execz .LBB2_270
.LBB2_269:                              ;   in Loop: Header=BB2_201 Depth=2
	flat_store_short v[20:21], v4 offset:6
.LBB2_270:                              ;   in Loop: Header=BB2_201 Depth=2
	s_or_b64 exec, exec, s[16:17]
	s_mov_b64 s[16:17], 0
.LBB2_271:                              ;   in Loop: Header=BB2_201 Depth=2
	s_and_b64 vcc, exec, s[16:17]
	s_cbranch_vccz .LBB2_200
; %bb.272:                              ;   in Loop: Header=BB2_201 Depth=2
	v_lshlrev_b32_e32 v2, 16, v2
	v_and_b32_e32 v1, 0xffff, v1
	v_or_b32_e32 v1, v2, v1
	v_lshlrev_b32_e32 v2, 16, v4
	v_and_b32_e32 v3, 0xffff, v3
	v_or3_b32 v3, v2, v3, 0
	v_or3_b32 v2, 0, 0, v1
	global_store_dwordx2 v[20:21], v[2:3], off
	s_branch .LBB2_200
.LBB2_273:                              ;   in Loop: Header=BB2_201 Depth=2
	flat_store_short v[20:21], v2 offset:2
	s_or_b64 exec, exec, s[18:19]
	v_cmp_lt_u32_e64 s[16:17], 2, v17
	s_and_saveexec_b64 s[18:19], s[16:17]
	s_cbranch_execz .LBB2_268
.LBB2_274:                              ;   in Loop: Header=BB2_201 Depth=2
	flat_store_short v[20:21], v3 offset:4
	s_or_b64 exec, exec, s[18:19]
	s_and_saveexec_b64 s[16:17], vcc
	s_cbranch_execnz .LBB2_269
	s_branch .LBB2_270
.LBB2_275:                              ;   in Loop: Header=BB2_21 Depth=1
	s_or_b64 exec, exec, s[42:43]
	v_accvgpr_read_b32 v6, a6
	v_accvgpr_read_b32 v7, a7
.LBB2_276:                              ;   in Loop: Header=BB2_21 Depth=1
	s_or_b64 exec, exec, s[22:23]
	s_and_saveexec_b64 s[16:17], s[6:7]
	s_cbranch_execnz .LBB2_278
; %bb.277:                              ;   in Loop: Header=BB2_21 Depth=1
	s_or_b64 exec, exec, s[16:17]
	s_and_saveexec_b64 s[16:17], s[12:13]
	s_cbranch_execz .LBB2_20
	s_branch .LBB2_296
.LBB2_278:                              ;   in Loop: Header=BB2_21 Depth=1
	s_and_saveexec_b64 s[18:19], s[36:37]
	s_xor_b64 s[18:19], exec, s[18:19]
	s_cbranch_execz .LBB2_293
; %bb.279:                              ;   in Loop: Header=BB2_21 Depth=1
	s_and_saveexec_b64 s[20:21], s[8:9]
	s_cbranch_execz .LBB2_292
; %bb.280:                              ;   in Loop: Header=BB2_21 Depth=1
	s_mov_b64 s[42:43], exec
	v_mbcnt_lo_u32_b32 v0, s42, 0
	v_mbcnt_hi_u32_b32 v0, s43, v0
	v_cmp_eq_u32_e32 vcc, 0, v0
	s_waitcnt lgkmcnt(0)
	s_and_saveexec_b64 s[22:23], vcc
	s_cbranch_execz .LBB2_282
; %bb.281:                              ;   in Loop: Header=BB2_21 Depth=1
	s_bcnt1_i32_b64 vcc_lo, s[42:43]
	v_mov_b32_e32 v54, vcc_lo
	ds_add_u64 v0, v[54:55]
	s_trap 2
.LBB2_282:                              ;   in Loop: Header=BB2_21 Depth=1
	s_or_b64 exec, exec, s[22:23]
	s_trap 2
	ds_read_b64 v[0:1], v0
	v_accvgpr_read_b32 v2, a20
	v_accvgpr_read_b32 v3, a21
	v_lshl_add_u64 v[52:53], v[52:53], 0, v[2:3]
	s_waitcnt lgkmcnt(0)
	v_cmp_lt_u64_e32 vcc, v[0:1], v[52:53]
	s_and_saveexec_b64 s[22:23], vcc
	s_cbranch_execz .LBB2_291
; %bb.283:                              ;   in Loop: Header=BB2_21 Depth=1
	s_mov_b32 s52, 0
	s_mov_b64 s[42:43], 0
                                        ; implicit-def: $sgpr44_sgpr45
                                        ; implicit-def: $sgpr46_sgpr47
	s_branch .LBB2_285
.LBB2_284:                              ;   in Loop: Header=BB2_285 Depth=2
	s_or_b64 exec, exec, s[50:51]
	s_and_b64 vcc, exec, vcc
	s_or_b64 s[42:43], vcc, s[42:43]
	s_andn2_b64 vcc, s[44:45], exec
	s_and_b64 s[44:45], s[46:47], exec
	s_or_b64 s[44:45], vcc, s[44:45]
	s_andn2_b64 exec, exec, s[42:43]
	s_cbranch_execz .LBB2_289
.LBB2_285:                              ;   Parent Loop BB2_21 Depth=1
                                        ; =>  This Inner Loop Header: Depth=2
	s_add_i32 s52, s52, 1
	s_cmpk_lg_i32 s52, 0x2710
	s_cselect_b64 s[48:49], -1, 0
	s_and_b64 vcc, exec, s[48:49]
                                        ; implicit-def: $sgpr50_sgpr51
	s_cbranch_vccnz .LBB2_287
; %bb.286:                              ;   in Loop: Header=BB2_285 Depth=2
	s_trap 2
	ds_read_b64 v[0:1], v0
	s_andn2_b64 s[48:49], s[48:49], exec
	s_mov_b32 s52, 0
	s_mov_b64 s[50:51], -1
	s_waitcnt vmcnt(0) lgkmcnt(0)
	flat_load_dword v0, v[0:1] sc0 sc1
	s_waitcnt vmcnt(0) lgkmcnt(0)
	buffer_inv sc0 sc1
	v_cmp_eq_u32_e32 vcc, 0, v0
	s_and_b64 vcc, vcc, exec
	s_or_b64 s[48:49], s[48:49], vcc
.LBB2_287:                              ;   in Loop: Header=BB2_285 Depth=2
	s_andn2_b64 s[46:47], s[46:47], exec
	s_and_b64 s[50:51], s[50:51], exec
	s_mov_b64 vcc, -1
	s_or_b64 s[46:47], s[46:47], s[50:51]
	s_and_saveexec_b64 s[50:51], s[48:49]
	s_cbranch_execz .LBB2_284
; %bb.288:                              ;   in Loop: Header=BB2_285 Depth=2
	s_sleep 1
	s_trap 2
	ds_read_b64 v[0:1], v0
	s_andn2_b64 s[46:47], s[46:47], exec
	s_waitcnt lgkmcnt(0)
	v_cmp_ge_u64_e32 vcc, v[0:1], v[52:53]
	s_orn2_b64 vcc, vcc, exec
	s_branch .LBB2_284
.LBB2_289:                              ;   in Loop: Header=BB2_21 Depth=1
	s_or_b64 exec, exec, s[42:43]
	s_and_saveexec_b64 vcc, s[44:45]
	s_xor_b64 vcc, exec, vcc
	s_cbranch_execz .LBB2_291
; %bb.290:                              ;   in Loop: Header=BB2_21 Depth=1
	v_mov_b32_e32 v0, 1
	ds_write_b32 v0, v0
	s_trap 2
.LBB2_291:                              ;   in Loop: Header=BB2_21 Depth=1
	s_or_b64 exec, exec, s[22:23]
	;;#ASMSTART
	s_wakeup
	;;#ASMEND
.LBB2_292:                              ;   in Loop: Header=BB2_21 Depth=1
	s_or_b64 exec, exec, s[20:21]
.LBB2_293:                              ;   in Loop: Header=BB2_21 Depth=1
	s_andn2_saveexec_b64 s[18:19], s[18:19]
	s_cbranch_execz .LBB2_295
; %bb.294:                              ;   in Loop: Header=BB2_21 Depth=1
	s_waitcnt lgkmcnt(0)
	s_barrier
.LBB2_295:                              ;   in Loop: Header=BB2_21 Depth=1
	s_or_b64 exec, exec, s[18:19]
	s_or_b64 exec, exec, s[16:17]
	s_and_saveexec_b64 s[16:17], s[12:13]
	s_cbranch_execz .LBB2_20
.LBB2_296:                              ;   in Loop: Header=BB2_21 Depth=1
	v_accvgpr_read_b32 v0, a16
	v_lshl_add_u64 v[34:35], v[34:35], 0, 1
	v_accvgpr_read_b32 v1, a17
	flat_store_dwordx2 v[0:1], v[34:35] sc0 sc1
	s_branch .LBB2_20
.LBB2_297:
	s_or_b64 exec, exec, s[34:35]
	v_accvgpr_read_b32 v27, a11
	v_accvgpr_read_b32 v39, a13
	;; [unrolled: 1-line block ×6, first 2 shown]
.LBB2_298:
	s_or_b64 exec, exec, s[28:29]
; %bb.299:
	s_and_saveexec_b64 s[2:3], s[26:27]
	s_cbranch_execnz .LBB2_302
; %bb.300:
	s_or_b64 exec, exec, s[2:3]
	s_and_saveexec_b64 s[2:3], s[0:1]
	s_cbranch_execnz .LBB2_303
.LBB2_301:
	s_or_b64 exec, exec, s[2:3]
	v_cmp_ne_u32_e32 vcc, 64, v16
	s_and_saveexec_b64 s[0:1], vcc
	s_cbranch_execnz .LBB2_304
	s_branch .LBB2_321
.LBB2_302:
	s_waitcnt vmcnt(0) lgkmcnt(0)
	flat_store_dwordx2 v[38:39], v[34:35] offset:104
	s_or_b64 exec, exec, s[2:3]
	s_and_saveexec_b64 s[2:3], s[0:1]
	s_cbranch_execz .LBB2_301
.LBB2_303:
	s_waitcnt vmcnt(0) lgkmcnt(0)
	flat_store_dwordx2 v[26:27], v[14:15] offset:104
	s_or_b64 exec, exec, s[2:3]
	v_cmp_ne_u32_e32 vcc, 64, v16
	s_and_saveexec_b64 s[0:1], vcc
	s_cbranch_execz .LBB2_321
.LBB2_304:
	v_cmp_ne_u32_sdwa s[2:3], v17, v16 src0_sel:WORD_0 src1_sel:DWORD
	s_and_saveexec_b64 s[4:5], s[2:3]
	s_xor_b64 s[2:3], exec, s[4:5]
	s_cbranch_execz .LBB2_319
; %bb.305:
	v_and_b32_e32 v0, 63, v31
	v_cmp_eq_u32_e32 vcc, 0, v0
	s_and_saveexec_b64 s[4:5], vcc
	s_cbranch_execz .LBB2_318
; %bb.306:
	s_mov_b64 s[8:9], exec
	v_mbcnt_lo_u32_b32 v0, s8, 0
	v_mbcnt_hi_u32_b32 v0, s9, v0
	v_cmp_eq_u32_e32 vcc, 0, v0
	s_waitcnt lgkmcnt(0)
	s_and_saveexec_b64 s[6:7], vcc
	s_cbranch_execz .LBB2_308
; %bb.307:
	s_bcnt1_i32_b64 s8, s[8:9]
	v_mov_b32_e32 v0, s8
	v_mov_b32_e32 v1, 0
	ds_add_u64 v0, v[0:1]
	s_trap 2
.LBB2_308:
	s_or_b64 exec, exec, s[6:7]
	v_ashrrev_i32_e32 v0, 31, v16
	v_lshrrev_b32_e32 v0, 26, v0
	s_trap 2
	ds_read_b64 v[2:3], v0
	v_add_u32_e32 v0, v16, v0
	v_ashrrev_i32_e32 v0, 6, v0
	v_ashrrev_i32_e32 v1, 31, v0
	v_lshl_add_u64 v[0:1], v[52:53], 0, v[0:1]
	s_waitcnt lgkmcnt(0)
	v_cmp_lt_u64_e32 vcc, v[2:3], v[0:1]
	s_and_saveexec_b64 s[6:7], vcc
	s_cbranch_execz .LBB2_317
; %bb.309:
	s_mov_b32 s20, 0
	s_mov_b64 s[8:9], 0
                                        ; implicit-def: $sgpr10_sgpr11
                                        ; implicit-def: $sgpr12_sgpr13
	s_branch .LBB2_311
.LBB2_310:                              ;   in Loop: Header=BB2_311 Depth=1
	s_or_b64 exec, exec, s[18:19]
	s_and_b64 s[14:15], exec, s[16:17]
	s_or_b64 s[8:9], s[14:15], s[8:9]
	s_andn2_b64 s[10:11], s[10:11], exec
	s_and_b64 s[14:15], s[12:13], exec
	s_or_b64 s[10:11], s[10:11], s[14:15]
	s_andn2_b64 exec, exec, s[8:9]
	s_cbranch_execz .LBB2_315
.LBB2_311:                              ; =>This Inner Loop Header: Depth=1
	s_add_i32 s20, s20, 1
	s_cmpk_lg_i32 s20, 0x2710
	s_cselect_b64 s[14:15], -1, 0
	s_and_b64 vcc, exec, s[14:15]
                                        ; implicit-def: $sgpr18_sgpr19
	s_cbranch_vccnz .LBB2_313
; %bb.312:                              ;   in Loop: Header=BB2_311 Depth=1
	s_trap 2
	ds_read_b64 v[2:3], v0
	s_andn2_b64 s[14:15], s[14:15], exec
	s_mov_b32 s20, 0
	s_mov_b64 s[18:19], -1
	s_waitcnt vmcnt(0) lgkmcnt(0)
	flat_load_dword v2, v[2:3] sc0 sc1
	s_waitcnt vmcnt(0) lgkmcnt(0)
	buffer_inv sc0 sc1
	v_cmp_eq_u32_e32 vcc, 0, v2
	s_and_b64 s[16:17], vcc, exec
	s_or_b64 s[14:15], s[14:15], s[16:17]
.LBB2_313:                              ;   in Loop: Header=BB2_311 Depth=1
	s_andn2_b64 s[12:13], s[12:13], exec
	s_and_b64 s[18:19], s[18:19], exec
	s_mov_b64 s[16:17], -1
	s_or_b64 s[12:13], s[12:13], s[18:19]
	s_and_saveexec_b64 s[18:19], s[14:15]
	s_cbranch_execz .LBB2_310
; %bb.314:                              ;   in Loop: Header=BB2_311 Depth=1
	s_sleep 1
	s_trap 2
	ds_read_b64 v[2:3], v0
	s_andn2_b64 s[12:13], s[12:13], exec
	s_waitcnt lgkmcnt(0)
	v_cmp_ge_u64_e32 vcc, v[2:3], v[0:1]
	s_orn2_b64 s[16:17], vcc, exec
	s_branch .LBB2_310
.LBB2_315:
	s_or_b64 exec, exec, s[8:9]
	s_and_saveexec_b64 s[8:9], s[10:11]
	s_xor_b64 s[8:9], exec, s[8:9]
	s_cbranch_execz .LBB2_317
; %bb.316:
	v_mov_b32_e32 v0, 1
	ds_write_b32 v0, v0
	s_trap 2
.LBB2_317:
	s_or_b64 exec, exec, s[6:7]
	;;#ASMSTART
	s_wakeup
	;;#ASMEND
.LBB2_318:
	s_or_b64 exec, exec, s[4:5]
.LBB2_319:
	s_andn2_saveexec_b64 s[2:3], s[2:3]
	s_cbranch_execz .LBB2_321
; %bb.320:
	s_waitcnt lgkmcnt(0)
	s_barrier
.LBB2_321:
	s_or_b64 exec, exec, s[0:1]
	scratch_load_dword a43, off, s32        ; 4-byte Folded Reload
	scratch_load_dword a42, off, s32 offset:4 ; 4-byte Folded Reload
	scratch_load_dword a40, off, s32 offset:8 ; 4-byte Folded Reload
	;; [unrolled: 1-line block ×21, first 2 shown]
	s_waitcnt lgkmcnt(0)
	scratch_load_dword v43, off, s32 offset:88 ; 4-byte Folded Reload
	scratch_load_dword v42, off, s32 offset:92 ; 4-byte Folded Reload
	;; [unrolled: 1-line block ×4, first 2 shown]
	v_readlane_b32 s30, v63, 26
	v_readlane_b32 s31, v63, 27
	;; [unrolled: 1-line block ×28, first 2 shown]
	s_or_saveexec_b64 s[0:1], -1
	scratch_load_dword v63, off, s32 offset:104 ; 4-byte Folded Reload
	s_mov_b64 exec, s[0:1]
	s_waitcnt vmcnt(0)
	s_setpc_b64 s[30:31]
.Lfunc_end2:
	.size	_ZN12_GLOBAL__N_17runRingI6__half10FuncMinMaxIS1_E7ProtoLLLi0ELi2ELi0EEEviiP15ncclDevWorkColl, .Lfunc_end2-_ZN12_GLOBAL__N_17runRingI6__half10FuncMinMaxIS1_E7ProtoLLLi0ELi2ELi0EEEviiP15ncclDevWorkColl
                                        ; -- End function
	.section	.AMDGPU.csdata,"",@progbits
; Function info:
; codeLenInByte = 9836
; NumSgprs: 66
; NumVgprs: 64
; NumAgprs: 44
; TotalNumVgprs: 108
; ScratchSize: 112
; MemoryBound: 0
	.text
	.p2align	2                               ; -- Begin function _Z50ncclDevFunc_ReduceScatter_RING_LL_MinMax_f16_0_0_2v
	.type	_Z50ncclDevFunc_ReduceScatter_RING_LL_MinMax_f16_0_0_2v,@function
_Z50ncclDevFunc_ReduceScatter_RING_LL_MinMax_f16_0_0_2v: ; @_Z50ncclDevFunc_ReduceScatter_RING_LL_MinMax_f16_0_0_2v
; %bb.0:
	s_waitcnt vmcnt(0) expcnt(0) lgkmcnt(0)
	s_mov_b32 s0, s33
	s_mov_b32 s33, s32
	s_or_saveexec_b64 s[2:3], -1
	scratch_store_dword off, v43, s33 offset:16 ; 4-byte Folded Spill
	s_mov_b64 exec, s[2:3]
	v_writelane_b32 v43, s0, 36
	s_add_i32 s32, s32, 32
	scratch_store_dword off, v40, s33 offset:12 ; 4-byte Folded Spill
	scratch_store_dword off, v41, s33 offset:8 ; 4-byte Folded Spill
	;; [unrolled: 1-line block ×3, first 2 shown]
	scratch_store_dword off, v63, s33       ; 4-byte Folded Spill
	v_writelane_b32 v43, s34, 0
	v_writelane_b32 v43, s35, 1
	;; [unrolled: 1-line block ×35, first 2 shown]
	s_nop 1
	v_writelane_b32 v43, s31, 35
	s_trap 2
	ds_read_b32 v0, v0
	v_mov_b32_e32 v40, v31
	v_and_b32_e32 v41, 0x3ff, v40
	s_mov_b32 s62, s12
	s_mov_b64 s[60:61], s[8:9]
	s_waitcnt lgkmcnt(0)
	v_cmp_lt_i32_e32 vcc, v41, v0
	s_and_saveexec_b64 s[0:1], vcc
	s_cbranch_execz .LBB3_5
; %bb.1:
	s_load_dword s2, s[60:61], 0x0
	v_mov_b32_e32 v1, 0
	s_mov_b32 s6, 0
	v_mov_b32_e32 v4, v41
                                        ; implicit-def: $vgpr2
	s_waitcnt lgkmcnt(0)
	s_cmp_lt_u32 s62, s2
	s_cselect_b32 s2, 12, 18
	s_add_u32 s2, s60, s2
	s_addc_u32 s3, s61, 0
	global_load_ushort v1, v1, s[2:3]
	s_trap 2
	ds_read_b32 v3, v0
	s_mov_b64 s[2:3], 0
	s_waitcnt vmcnt(0) lgkmcnt(0)
	v_mul_lo_u32 v3, v3, v1
	s_branch .LBB3_3
.LBB3_2:                                ;   in Loop: Header=BB3_3 Depth=1
	s_or_b64 exec, exec, s[4:5]
	v_add_u32_e32 v4, v4, v1
	v_cmp_ge_i32_e32 vcc, v4, v0
	s_or_b64 s[2:3], vcc, s[2:3]
	v_add_u32_e32 v2, v2, v3
	s_andn2_b64 exec, exec, s[2:3]
	s_cbranch_execz .LBB3_5
.LBB3_3:                                ; =>This Inner Loop Header: Depth=1
	ds_read_b32 v5, v2
	s_waitcnt lgkmcnt(0)
	v_and_b32_e32 v5, 0x1000000, v5
	v_cmp_ne_u32_e32 vcc, 0, v5
	s_and_saveexec_b64 s[4:5], vcc
	s_cbranch_execz .LBB3_2
; %bb.4:                                ;   in Loop: Header=BB3_3 Depth=1
	ds_read_b64 v[6:7], v2 offset:104
	s_waitcnt lgkmcnt(0)
	flat_load_ushort v5, v[6:7]
	v_mov_b32_e32 v7, s6
	s_waitcnt vmcnt(0) lgkmcnt(0)
	v_and_b32_e32 v6, 0xffff, v5
	ds_write_b64 v2, v[6:7] offset:104
	s_branch .LBB3_2
.LBB3_5:
	s_or_b64 exec, exec, s[0:1]
	s_waitcnt lgkmcnt(0)
	s_barrier
	s_trap 2
	ds_read_b32 v0, v0
	s_waitcnt lgkmcnt(0)
	v_cmp_gt_i32_e32 vcc, 1, v0
	s_cbranch_vccnz .LBB3_13
; %bb.6:
	s_mov_b32 s63, 0
	s_mov_b64 s[64:65], src_shared_base
	v_mov_b32_e32 v42, 6
	s_branch .LBB3_8
.LBB3_7:                                ;   in Loop: Header=BB3_8 Depth=1
	s_or_b64 exec, exec, s[66:67]
	s_trap 2
	ds_read_b32 v0, v0
	s_add_i32 s63, s63, 1
	s_waitcnt lgkmcnt(0)
	v_cmp_lt_i32_e32 vcc, s63, v0
	s_cbranch_vccz .LBB3_13
.LBB3_8:                                ; =>This Inner Loop Header: Depth=1
	s_trap 2
	ds_read_b32 v0, v0
	s_cmp_eq_u32 s63, 0
	s_cbranch_scc1 .LBB3_11
; %bb.9:                                ;   in Loop: Header=BB3_8 Depth=1
	s_trap 2
	s_waitcnt lgkmcnt(0)
	ds_read_b32 v1, v0
	s_waitcnt lgkmcnt(0)
	v_xor_b32_e32 v1, v1, v0
	v_and_b32_e32 v1, 0xff0000, v1
	v_cmp_eq_u32_e32 vcc, 0, v1
	s_cbranch_vccnz .LBB3_11
; %bb.10:                               ;   in Loop: Header=BB3_8 Depth=1
	s_barrier
	ds_read_b32 v0, v0
.LBB3_11:                               ;   in Loop: Header=BB3_8 Depth=1
	s_waitcnt lgkmcnt(0)
	v_lshlrev_b32_sdwa v1, v42, v0 dst_sel:DWORD dst_unused:UNUSED_PAD src0_sel:DWORD src1_sel:BYTE_2
	v_cmp_lt_u32_e32 vcc, v41, v1
	s_and_saveexec_b64 s[66:67], vcc
	s_cbranch_execz .LBB3_7
; %bb.12:                               ;   in Loop: Header=BB3_8 Depth=1
	s_mov_b64 s[8:9], s[60:61]
	s_mov_b32 s12, s62
	v_mov_b32_e32 v31, v40
	v_mov_b32_e32 v0, v41
	;; [unrolled: 1-line block ×3, first 2 shown]
	s_getpc_b64 s[0:1]
	s_add_u32 s0, s0, _ZN12_GLOBAL__N_17runRingI6__half10FuncMinMaxIS1_E7ProtoLLLi0ELi2ELi0EEEviiP15ncclDevWorkColl@rel32@lo+4
	s_addc_u32 s1, s1, _ZN12_GLOBAL__N_17runRingI6__half10FuncMinMaxIS1_E7ProtoLLLi0ELi2ELi0EEEviiP15ncclDevWorkColl@rel32@hi+12
	s_swappc_b64 s[30:31], s[0:1]
	s_branch .LBB3_7
.LBB3_13:
	scratch_load_dword v63, off, s33        ; 4-byte Folded Reload
	scratch_load_dword v42, off, s33 offset:4 ; 4-byte Folded Reload
	scratch_load_dword v41, off, s33 offset:8 ; 4-byte Folded Reload
	;; [unrolled: 1-line block ×3, first 2 shown]
	v_readlane_b32 s30, v43, 34
	v_readlane_b32 s31, v43, 35
	;; [unrolled: 1-line block ×37, first 2 shown]
	s_or_saveexec_b64 s[2:3], -1
	scratch_load_dword v43, off, s33 offset:16 ; 4-byte Folded Reload
	s_mov_b64 exec, s[2:3]
	s_addk_i32 s32, 0xffe0
	s_mov_b32 s33, s0
	s_waitcnt vmcnt(0)
	s_setpc_b64 s[30:31]
.Lfunc_end3:
	.size	_Z50ncclDevFunc_ReduceScatter_RING_LL_MinMax_f16_0_0_2v, .Lfunc_end3-_Z50ncclDevFunc_ReduceScatter_RING_LL_MinMax_f16_0_0_2v
                                        ; -- End function
	.section	.AMDGPU.csdata,"",@progbits
; Function info:
; codeLenInByte = 1188
; NumSgprs: 74
; NumVgprs: 64
; NumAgprs: 44
; TotalNumVgprs: 108
; ScratchSize: 144
; MemoryBound: 0
	.text
	.p2align	2                               ; -- Begin function _ZN12_GLOBAL__N_17runRingI6__half10FuncMinMaxIS1_E7ProtoLLLi0ELi4ELi0EEEviiP15ncclDevWorkColl
	.type	_ZN12_GLOBAL__N_17runRingI6__half10FuncMinMaxIS1_E7ProtoLLLi0ELi4ELi0EEEviiP15ncclDevWorkColl,@function
_ZN12_GLOBAL__N_17runRingI6__half10FuncMinMaxIS1_E7ProtoLLLi0ELi4ELi0EEEviiP15ncclDevWorkColl: ; @_ZN12_GLOBAL__N_17runRingI6__half10FuncMinMaxIS1_E7ProtoLLLi0ELi4ELi0EEEviiP15ncclDevWorkColl
; %bb.0:
	s_waitcnt vmcnt(0) expcnt(0) lgkmcnt(0)
	s_or_saveexec_b64 s[0:1], -1
	scratch_store_dword off, v63, s32 offset:104 ; 4-byte Folded Spill
	s_mov_b64 exec, s[0:1]
	scratch_store_dword off, v40, s32 offset:100 ; 4-byte Folded Spill
	scratch_store_dword off, v41, s32 offset:96 ; 4-byte Folded Spill
	;; [unrolled: 1-line block ×25, first 2 shown]
	scratch_store_dword off, a43, s32       ; 4-byte Folded Spill
	v_writelane_b32 v63, s34, 0
	v_writelane_b32 v63, s35, 1
	;; [unrolled: 1-line block ×27, first 2 shown]
	s_nop 1
	v_writelane_b32 v63, s31, 27
	s_trap 2
	flat_load_dword v10, v[2:3]
	flat_load_dwordx4 v[20:23], v[2:3] offset:72
	flat_load_dwordx2 v[4:5], v[2:3] offset:88
	ds_read_b32 v8, v0
	ds_read_b64 v[18:19], v0
	v_mov_b32_e32 v24, v0
	v_mov_b32_e32 v16, v1
                                        ; implicit-def: $agpr4_agpr5
	s_waitcnt lgkmcnt(0)
	v_readfirstlane_b32 s24, v8
	s_waitcnt vmcnt(0)
	v_not_b32_sdwa v9, v10 dst_sel:DWORD dst_unused:UNUSED_PAD src0_sel:BYTE_0
	v_add_u32_sdwa v0, v10, v9 dst_sel:DWORD dst_unused:UNUSED_PAD src0_sel:BYTE_1 src1_sel:DWORD
	v_ashrrev_i32_e32 v1, 31, v0
	v_mul_lo_u32 v11, v23, v0
	v_mad_u64_u32 v[6:7], s[0:1], v22, v0, 0
	v_mul_lo_u32 v0, v22, v1
	v_add3_u32 v7, v7, v0, v11
	v_cmp_ne_u32_sdwa s[0:1], v10, v8 src0_sel:BYTE_0 src1_sel:DWORD
                                        ; implicit-def: $vgpr0_vgpr1
	s_and_saveexec_b64 s[2:3], s[0:1]
	s_xor_b64 s[0:1], exec, s[2:3]
	s_cbranch_execz .LBB4_6
; %bb.1:
	v_cmp_ne_u32_sdwa s[2:3], v10, v8 src0_sel:BYTE_1 src1_sel:DWORD
                                        ; implicit-def: $vgpr0_vgpr1
                                        ; implicit-def: $agpr4_agpr5
	s_and_saveexec_b64 s[4:5], s[2:3]
	s_xor_b64 s[2:3], exec, s[4:5]
	s_cbranch_execz .LBB4_3
; %bb.2:
	flat_load_dwordx2 v[0:1], v[2:3] offset:96
	v_add_u32_e32 v8, v8, v9
	v_ashrrev_i32_e32 v9, 31, v8
	v_mul_lo_u32 v9, v22, v9
	v_mul_lo_u32 v10, v23, v8
	v_mad_u64_u32 v[12:13], s[4:5], v22, v8, v[20:21]
	v_add3_u32 v13, v10, v13, v9
	v_accvgpr_write_b32 a4, v12
	v_accvgpr_write_b32 a5, v13
	s_waitcnt vmcnt(0) lgkmcnt(0)
	v_lshrrev_b64 v[0:1], 18, v[0:1]
.LBB4_3:
	s_andn2_saveexec_b64 s[2:3], s[2:3]
	s_cbranch_execz .LBB4_5
; %bb.4:
	flat_load_dword v0, v[2:3] offset:100
	v_lshl_add_u64 v[8:9], v[6:7], 0, v[20:21]
	v_accvgpr_write_b32 a4, v8
	v_accvgpr_write_b32 a5, v9
	v_mov_b64_e32 v[22:23], v[4:5]
	s_waitcnt vmcnt(0) lgkmcnt(0)
	v_lshrrev_b32_e32 v0, 7, v0
.LBB4_5:
	s_or_b64 exec, exec, s[2:3]
.LBB4_6:
	s_andn2_saveexec_b64 s[0:1], s[0:1]
	s_cbranch_execz .LBB4_8
; %bb.7:
	flat_load_dwordx2 v[0:1], v[2:3] offset:96
	v_mov_b64_e32 v[8:9], 0
	v_accvgpr_write_b32 a4, v8
	v_accvgpr_write_b32 a5, v9
	v_mov_b64_e32 v[22:23], v[20:21]
	s_waitcnt vmcnt(0) lgkmcnt(0)
	v_lshlrev_b64 v[0:1], 3, v[0:1]
.LBB4_8:
	s_or_b64 exec, exec, s[0:1]
	s_load_dword s0, s[8:9], 0x0
	flat_load_dwordx2 v[8:9], v[2:3] offset:104
	flat_load_ushort v11, v[2:3] offset:8
	flat_load_dword v10, v[2:3] offset:4
	flat_load_dwordx4 a[6:9], v[2:3] offset:16
	v_mov_b32_e32 v3, 0
	v_and_b32_e32 v1, 63, v24
	s_waitcnt lgkmcnt(0)
	s_cmp_lt_u32 s12, s0
	s_cselect_b32 s0, 12, 18
	s_add_u32 s0, s8, s0
	s_addc_u32 s1, s9, 0
	global_load_ushort v17, v3, s[0:1]
	s_trap 2
	ds_read_b32 v2, v0
	s_mov_b32 s2, 0
	v_mov_b64_e32 v[26:27], 0
	v_cmp_eq_u32_e64 s[0:1], 0, v1
	s_waitcnt lgkmcnt(0)
	v_cmp_gt_i32_e32 vcc, 0, v2
	v_readfirstlane_b32 s4, v2
	s_waitcnt vmcnt(0)
	v_lshrrev_b64 v[10:11], 31, v[10:11]
	v_and_b32_e32 v9, 3, v10
	s_cbranch_vccnz .LBB4_10
; %bb.9:
	s_trap 2
	ds_read_b64 v[10:11], v0
	v_lshlrev_b64 v[2:3], 3, v[2:3]
	s_movk_i32 s2, 0xa8
	s_waitcnt lgkmcnt(0)
	v_lshl_add_u64 v[2:3], v[10:11], 0, v[2:3]
	flat_load_dwordx2 v[2:3], v[2:3]
	v_and_b32_e32 v10, 0xffff, v9
	s_waitcnt vmcnt(0) lgkmcnt(0)
	v_mad_u64_u32 v[2:3], s[2:3], v10, s2, v[2:3]
	flat_load_dwordx2 a[14:15], v[2:3] offset:504
	flat_load_dwordx2 v[28:29], v[2:3] offset:608
	s_mov_b64 s[2:3], 0x1f8
	v_lshl_add_u64 v[2:3], v[2:3], 0, s[2:3]
	v_cndmask_b32_e64 v39, 0, v3, s[0:1]
	v_cndmask_b32_e64 v38, 0, v2, s[0:1]
	s_mov_b32 s2, 1
	s_branch .LBB4_11
.LBB4_10:
	v_mov_b64_e32 v[38:39], v[26:27]
                                        ; implicit-def: $vgpr28_vgpr29
                                        ; implicit-def: $agpr14_agpr15
.LBB4_11:
	s_trap 2
	ds_read_b32 v2, v0
	s_waitcnt lgkmcnt(0)
	v_cmp_gt_i32_e32 vcc, 0, v2
	s_cbranch_vccnz .LBB4_13
; %bb.12:
	s_trap 2
	ds_read_b64 v[10:11], v0
	v_mov_b32_e32 v3, 0
	v_lshlrev_b64 v[2:3], 3, v[2:3]
	v_and_b32_e32 v9, 0xffff, v9
	s_movk_i32 s0, 0xa8
	s_waitcnt lgkmcnt(0)
	v_lshl_add_u64 v[2:3], v[10:11], 0, v[2:3]
	flat_load_dwordx2 v[2:3], v[2:3]
	v_cmp_eq_u32_e32 vcc, 0, v1
	s_waitcnt vmcnt(0) lgkmcnt(0)
	v_mad_u64_u32 v[2:3], s[0:1], v9, s0, v[2:3]
	flat_load_dwordx2 v[32:33], v[2:3]
	flat_load_dwordx2 v[42:43], v[2:3] offset:104
	v_cndmask_b32_e32 v27, 0, v3, vcc
	v_cndmask_b32_e32 v26, 0, v2, vcc
	s_branch .LBB4_14
.LBB4_13:
                                        ; implicit-def: $vgpr42_vgpr43
                                        ; implicit-def: $vgpr32_vgpr33
.LBB4_14:
	v_subrev_u32_e32 v2, 64, v16
	v_mov_b64_e32 v[36:37], 0
	v_cmp_le_i32_e32 vcc, v2, v24
	v_cmp_gt_u32_e64 s[0:1], s2, v1
	v_accvgpr_write_b32 a16, v36
	s_and_b64 s[26:27], vcc, s[0:1]
	v_accvgpr_write_b32 a17, v37
                                        ; implicit-def: $vgpr34_vgpr35
	s_and_saveexec_b64 s[0:1], s[26:27]
	s_cbranch_execz .LBB4_16
; %bb.15:
	flat_load_dwordx2 a[16:17], v[38:39] offset:56
	flat_load_dwordx2 v[34:35], v[38:39] offset:104
.LBB4_16:
	s_or_b64 exec, exec, s[0:1]
	v_cmp_gt_i32_e64 s[0:1], s2, v24
	v_mov_b64_e32 v[12:13], v[36:37]
                                        ; implicit-def: $vgpr48_vgpr49
	s_and_saveexec_b64 s[2:3], s[0:1]
	s_cbranch_execz .LBB4_18
; %bb.17:
	flat_load_dwordx2 v[36:37], v[26:27] offset:56
	s_waitcnt vmcnt(0) lgkmcnt(0)
	flat_load_dwordx2 v[48:49], v[36:37] sc0 sc1
	s_waitcnt vmcnt(0)
	flat_load_dwordx4 v[12:15], v[26:27] offset:96
.LBB4_18:
	s_or_b64 exec, exec, s[2:3]
	v_cmp_ne_u64_e32 vcc, 0, v[22:23]
	v_mov_b64_e32 v[52:53], 0
	s_and_saveexec_b64 s[28:29], vcc
	s_cbranch_execz .LBB4_298
; %bb.19:
	s_ashr_i32 s2, s4, 31
	s_lshr_b32 s2, s2, 29
	s_ashr_i32 s25, s24, 31
	s_add_i32 s4, s4, s2
	v_lshl_add_u64 v[2:3], v[4:5], 0, v[20:21]
	s_lshl_b64 s[2:3], s[24:25], 2
	v_lshl_add_u64 v[40:41], v[2:3], 0, v[6:7]
	v_lshl_add_u64 v[2:3], v[18:19], 0, s[2:3]
	v_accvgpr_write_b32 a1, v17
	v_cmp_ne_u32_sdwa s[36:37], v17, v16 src0_sel:WORD_0 src1_sel:DWORD
	v_and_b32_e32 v1, 63, v31
	v_ashrrev_i32_e32 v17, 31, v16
	v_lshl_add_u64 v[2:3], v[2:3], 0, -4
	v_cmp_eq_u32_e64 s[8:9], 0, v1
	v_lshrrev_b32_e32 v1, 26, v17
	v_accvgpr_write_b32 a19, v3
	v_add_u32_e32 v1, v16, v1
	v_accvgpr_write_b32 a18, v2
	v_ashrrev_i32_e32 v2, 6, v1
	v_ashrrev_i32_e32 v3, 31, v2
	v_accvgpr_write_b32 a21, v3
	v_accvgpr_write_b32 a20, v2
	v_lshlrev_b32_e32 v2, 2, v24
	v_ashrrev_i32_e32 v3, 31, v2
	v_accvgpr_write_b32 a23, v3
	v_accvgpr_read_b32 v4, a6
	v_accvgpr_write_b32 a22, v2
	v_lshlrev_b64 v[2:3], 1, v[2:3]
	v_accvgpr_read_b32 v5, a7
	v_accvgpr_read_b32 v6, a8
	;; [unrolled: 1-line block ×3, first 2 shown]
	v_lshl_add_u64 v[10:11], v[6:7], 0, v[2:3]
	v_lshl_add_u64 v[2:3], v[4:5], 0, v[2:3]
	v_accvgpr_write_b32 a27, v3
	v_accvgpr_write_b32 a26, v2
	v_accvgpr_read_b32 v2, a4
	v_accvgpr_write_b32 a10, v26
	v_and_b32_e32 v1, 1, v8
	v_accvgpr_read_b32 v3, a5
	v_accvgpr_write_b32 a11, v27
	v_and_b32_e32 v26, 0xfffff8, v0
	v_cmp_eq_u32_e64 s[10:11], 1, v1
	v_and_b32_e32 v54, 1, v4
	v_lshl_add_u64 v[4:5], v[2:3], 1, v[10:11]
	v_lshlrev_b32_e32 v1, 1, v0
	v_lshlrev_b32_e32 v0, 4, v0
	v_mov_b32_e32 v55, 0
	v_accvgpr_write_b32 a29, v5
	v_and_b32_e32 v0, 0xfffff80, v0
	v_accvgpr_write_b32 a28, v4
	v_and_b32_e32 v4, 0x1fffff0, v1
	v_mov_b32_e32 v5, v55
	v_lshlrev_b32_e32 v1, 1, v2
	v_accvgpr_write_b32 a35, v0
	v_lshlrev_b32_e32 v0, 4, v40
	s_ashr_i32 s6, s4, 3
	v_accvgpr_write_b32 a31, v5
	v_lshl_add_u32 v1, v24, 3, v1
	v_accvgpr_write_b32 a36, v0
	v_lshlrev_b32_e32 v0, 6, v16
	v_ashrrev_i32_e32 v25, 31, v24
	s_ashr_i32 s54, s4, 7
	s_and_b32 s25, s6, -16
	v_lshlrev_b32_e32 v56, 2, v16
	s_waitcnt vmcnt(0) lgkmcnt(0)
	v_accvgpr_read_b32 v8, a16
	v_accvgpr_write_b32 a25, v11
	v_accvgpr_write_b32 a30, v4
	v_lshlrev_b64 v[4:5], 1, v[40:41]
	v_add_lshl_u32 v2, v1, v6, 3
	v_accvgpr_write_b32 a37, v0
	v_lshl_add_u64 v[0:1], v[24:25], 4, v[32:33]
	v_accvgpr_write_b32 a12, v38
	s_mov_b32 s30, 0
	v_ashrrev_i32_e32 v57, 31, v56
	s_cmp_gt_i32 s24, 2
	v_accvgpr_read_b32 v9, a17
	v_accvgpr_write_b32 a24, v10
	v_accvgpr_write_b32 a33, v5
	;; [unrolled: 1-line block ×3, first 2 shown]
	v_mov_b64_e32 v[10:11], 0
	v_accvgpr_write_b32 a13, v39
	s_mov_b32 s31, 1
	v_mov_b32_e32 v27, v55
	s_mov_b64 s[34:35], 0
	v_cmp_ne_u64_e64 s[2:3], 0, v[36:37]
	v_cmp_ne_u64_e64 s[4:5], 0, v[12:13]
	v_cmp_ne_u32_e64 s[6:7], 64, v16
	v_accvgpr_write_b32 a0, v31
	s_cselect_b64 s[38:39], -1, 0
	v_cmp_ne_u64_e64 s[12:13], 0, v[8:9]
	v_cmp_eq_u64_e64 s[14:15], 0, v[54:55]
	v_accvgpr_write_b32 a32, v4
	v_accvgpr_write_b32 a34, v2
	s_movk_i32 s55, 0x2710
	s_mov_b64 s[40:41], 0x7ffffff8
	s_movk_i32 s56, 0x7c00
	s_movk_i32 s57, 0x7c01
	v_mov_b32_e32 v62, 0x7fff
	v_mov_b64_e32 v[2:3], v[22:23]
	v_mov_b32_e32 v22, 0
	v_lshlrev_b64 v[60:61], 1, v[56:57]
	v_accvgpr_write_b32 a38, v0
	v_lshlrev_b64 v[58:59], 4, v[16:17]
	v_mov_b64_e32 v[52:53], v[10:11]
	s_branch .LBB4_21
.LBB4_20:                               ;   in Loop: Header=BB4_21 Depth=1
	s_or_b64 exec, exec, s[16:17]
	v_accvgpr_read_b32 v0, a28
	v_accvgpr_read_b32 v2, a30
	;; [unrolled: 1-line block ×4, first 2 shown]
	v_lshl_add_u64 v[0:1], v[0:1], 0, v[2:3]
	v_accvgpr_write_b32 a29, v1
	v_accvgpr_read_b32 v2, a2
	v_lshl_add_u64 v[10:11], v[10:11], 0, v[6:7]
	v_accvgpr_write_b32 a28, v0
	v_accvgpr_read_b32 v3, a3
	v_accvgpr_read_b32 v0, a34
	;; [unrolled: 1-line block ×3, first 2 shown]
	v_cmp_ge_u64_e32 vcc, v[10:11], v[2:3]
	v_add_u32_e32 v0, v0, v1
	v_lshl_add_u64 v[28:29], v[28:29], 0, 1
	s_or_b64 s[34:35], vcc, s[34:35]
	v_accvgpr_write_b32 a34, v0
	v_mov_b64_e32 v[26:27], v[6:7]
	s_andn2_b64 exec, exec, s[34:35]
	s_cbranch_execz .LBB4_297
.LBB4_21:                               ; =>This Loop Header: Depth=1
                                        ;     Child Loop BB4_28 Depth 2
                                        ;     Child Loop BB4_45 Depth 2
	;; [unrolled: 1-line block ×5, first 2 shown]
                                        ;       Child Loop BB4_85 Depth 3
                                        ;       Child Loop BB4_101 Depth 3
                                        ;       Child Loop BB4_116 Depth 3
                                        ;         Child Loop BB4_124 Depth 4
                                        ;       Child Loop BB4_186 Depth 3
                                        ;       Child Loop BB4_78 Depth 3
                                        ;     Child Loop BB4_201 Depth 2
                                        ;       Child Loop BB4_209 Depth 3
                                        ;     Child Loop BB4_285 Depth 2
	v_accvgpr_read_b32 v0, a18
	v_accvgpr_read_b32 v1, a19
	flat_load_dword v6, v[0:1]
	v_sub_co_u32_e32 v0, vcc, v2, v10
	v_accvgpr_write_b32 a2, v2
	s_nop 0
	v_subb_co_u32_e32 v1, vcc, v3, v11, vcc
	v_cmp_lt_u64_e32 vcc, v[26:27], v[0:1]
	v_accvgpr_write_b32 a3, v3
	v_accvgpr_write_b32 a6, v26
	v_cndmask_b32_e32 v2, v0, v26, vcc
	v_lshl_add_u32 v0, v2, 2, 12
	v_and_b32_e32 v0, 0x7fffff0, v0
	v_accvgpr_write_b32 a7, v27
	v_accvgpr_write_b32 a40, v0
	s_and_saveexec_b64 s[16:17], s[2:3]
	s_cbranch_execz .LBB4_37
; %bb.22:                               ;   in Loop: Header=BB4_21 Depth=1
	v_lshl_add_u64 v[0:1], v[14:15], 0, 1
	v_lshl_add_u64 v[4:5], v[48:49], 0, 8
	v_cmp_lt_u64_e32 vcc, v[4:5], v[0:1]
	s_and_saveexec_b64 s[18:19], vcc
	s_cbranch_execz .LBB4_34
; %bb.23:                               ;   in Loop: Header=BB4_21 Depth=1
	s_sleep 1
	flat_load_dwordx2 v[48:49], v[36:37] sc1
	v_cmp_eq_u32_e32 vcc, 0, v22
	s_and_saveexec_b64 s[20:21], vcc
	s_cbranch_execz .LBB4_33
; %bb.24:                               ;   in Loop: Header=BB4_21 Depth=1
	v_cndmask_b32_e64 v3, 0, 1, vcc
	s_mov_b64 s[22:23], 0
                                        ; implicit-def: $sgpr42_sgpr43
	s_branch .LBB4_28
.LBB4_25:                               ;   in Loop: Header=BB4_28 Depth=2
	s_or_b64 exec, exec, s[50:51]
	s_orn2_b64 s[48:49], s[48:49], exec
.LBB4_26:                               ;   in Loop: Header=BB4_28 Depth=2
	s_or_b64 exec, exec, s[46:47]
	s_xor_b64 vcc, s[48:49], -1
	s_andn2_b64 s[42:43], s[42:43], exec
	s_and_b64 vcc, vcc, exec
	s_or_b64 s[42:43], s[42:43], vcc
.LBB4_27:                               ;   in Loop: Header=BB4_28 Depth=2
	s_or_b64 exec, exec, s[44:45]
	s_and_b64 vcc, exec, s[42:43]
	s_or_b64 s[22:23], vcc, s[22:23]
	s_andn2_b64 exec, exec, s[22:23]
	s_cbranch_execz .LBB4_32
.LBB4_28:                               ;   Parent Loop BB4_21 Depth=1
                                        ; =>  This Inner Loop Header: Depth=2
	s_waitcnt vmcnt(0) lgkmcnt(0)
	v_lshl_add_u64 v[4:5], v[48:49], 0, 8
	v_cmp_lt_u64_e32 vcc, v[4:5], v[0:1]
	v_mov_b32_e32 v22, 0
	s_or_b64 s[42:43], s[42:43], exec
	s_and_saveexec_b64 s[44:45], vcc
	s_cbranch_execz .LBB4_27
; %bb.29:                               ;   in Loop: Header=BB4_28 Depth=2
	s_sleep 1
	flat_load_dwordx2 v[48:49], v[36:37] sc1
	v_add_u32_e32 v3, 1, v3
	v_cmp_eq_u32_e32 vcc, s55, v3
	s_mov_b64 s[48:49], -1
	v_mov_b32_e32 v22, 0
	s_and_saveexec_b64 s[46:47], vcc
	s_cbranch_execz .LBB4_26
; %bb.30:                               ;   in Loop: Header=BB4_28 Depth=2
	s_trap 2
	ds_read_b64 v[4:5], v0
	v_mov_b32_e32 v3, 0
	v_mov_b32_e32 v22, 0
	s_waitcnt vmcnt(0) lgkmcnt(0)
	flat_load_dword v4, v[4:5] sc0 sc1
	s_waitcnt vmcnt(0) lgkmcnt(0)
	buffer_inv sc0 sc1
	v_cmp_ne_u32_e32 vcc, 0, v4
	s_and_saveexec_b64 s[50:51], vcc
	s_cbranch_execz .LBB4_25
; %bb.31:                               ;   in Loop: Header=BB4_28 Depth=2
	v_mov_b32_e32 v22, 1
	s_xor_b64 s[48:49], exec, -1
	ds_write_b32 v0, v4
	s_trap 2
	s_branch .LBB4_25
.LBB4_32:                               ;   in Loop: Header=BB4_21 Depth=1
	s_or_b64 exec, exec, s[22:23]
.LBB4_33:                               ;   in Loop: Header=BB4_21 Depth=1
	s_or_b64 exec, exec, s[20:21]
.LBB4_34:                               ;   in Loop: Header=BB4_21 Depth=1
	s_or_b64 exec, exec, s[18:19]
	s_and_saveexec_b64 s[18:19], s[4:5]
	s_cbranch_execz .LBB4_36
; %bb.35:                               ;   in Loop: Header=BB4_21 Depth=1
	v_and_b32_e32 v54, 0x7ffffff8, v14
	v_mov_b32_e32 v3, s25
	v_cmp_eq_u64_e32 vcc, s[40:41], v[54:55]
	v_accvgpr_read_b32 v4, a40
	s_nop 0
	v_cndmask_b32_e32 v4, v4, v3, vcc
	v_and_b32_e32 v3, 7, v14
	v_ashrrev_i32_e32 v5, 31, v4
	v_mad_u64_u32 v[8:9], s[20:21], v3, 24, v[12:13]
	flat_store_dwordx2 v[8:9], v[4:5] offset:8 sc0 sc1
	s_waitcnt vmcnt(0)
.LBB4_36:                               ;   in Loop: Header=BB4_21 Depth=1
	s_or_b64 exec, exec, s[18:19]
	v_mov_b64_e32 v[14:15], v[0:1]
.LBB4_37:                               ;   in Loop: Header=BB4_21 Depth=1
	s_or_b64 exec, exec, s[16:17]
	s_and_saveexec_b64 s[16:17], s[6:7]
	s_cbranch_execz .LBB4_56
; %bb.38:                               ;   in Loop: Header=BB4_21 Depth=1
	s_and_saveexec_b64 s[18:19], s[36:37]
	s_xor_b64 s[18:19], exec, s[18:19]
	s_cbranch_execz .LBB4_53
; %bb.39:                               ;   in Loop: Header=BB4_21 Depth=1
	s_and_saveexec_b64 s[20:21], s[8:9]
	s_cbranch_execz .LBB4_52
; %bb.40:                               ;   in Loop: Header=BB4_21 Depth=1
	s_mov_b64 s[42:43], exec
	v_mbcnt_lo_u32_b32 v0, s42, 0
	v_mbcnt_hi_u32_b32 v0, s43, v0
	v_cmp_eq_u32_e32 vcc, 0, v0
	s_waitcnt lgkmcnt(0)
	s_and_saveexec_b64 s[22:23], vcc
	s_cbranch_execz .LBB4_42
; %bb.41:                               ;   in Loop: Header=BB4_21 Depth=1
	s_bcnt1_i32_b64 vcc_lo, s[42:43]
	v_mov_b32_e32 v54, vcc_lo
	ds_add_u64 v0, v[54:55]
	s_trap 2
.LBB4_42:                               ;   in Loop: Header=BB4_21 Depth=1
	s_or_b64 exec, exec, s[22:23]
	s_trap 2
	ds_read_b64 v[0:1], v0
	v_accvgpr_read_b32 v4, a20
	v_accvgpr_read_b32 v5, a21
	v_lshl_add_u64 v[52:53], v[52:53], 0, v[4:5]
	s_waitcnt lgkmcnt(0)
	v_cmp_lt_u64_e32 vcc, v[0:1], v[52:53]
	s_and_saveexec_b64 s[22:23], vcc
	s_cbranch_execz .LBB4_51
; %bb.43:                               ;   in Loop: Header=BB4_21 Depth=1
	s_mov_b32 s52, 0
	s_mov_b64 s[42:43], 0
                                        ; implicit-def: $sgpr44_sgpr45
                                        ; implicit-def: $sgpr46_sgpr47
	s_branch .LBB4_45
.LBB4_44:                               ;   in Loop: Header=BB4_45 Depth=2
	s_or_b64 exec, exec, s[50:51]
	s_and_b64 vcc, exec, vcc
	s_or_b64 s[42:43], vcc, s[42:43]
	s_andn2_b64 vcc, s[44:45], exec
	s_and_b64 s[44:45], s[46:47], exec
	s_or_b64 s[44:45], vcc, s[44:45]
	s_andn2_b64 exec, exec, s[42:43]
	s_cbranch_execz .LBB4_49
.LBB4_45:                               ;   Parent Loop BB4_21 Depth=1
                                        ; =>  This Inner Loop Header: Depth=2
	s_add_i32 s52, s52, 1
	s_cmpk_lg_i32 s52, 0x2710
	s_cselect_b64 s[48:49], -1, 0
	s_and_b64 vcc, exec, s[48:49]
                                        ; implicit-def: $sgpr50_sgpr51
	s_cbranch_vccnz .LBB4_47
; %bb.46:                               ;   in Loop: Header=BB4_45 Depth=2
	s_trap 2
	ds_read_b64 v[0:1], v0
	s_andn2_b64 s[48:49], s[48:49], exec
	s_mov_b32 s52, 0
	s_mov_b64 s[50:51], -1
	s_waitcnt vmcnt(0) lgkmcnt(0)
	flat_load_dword v0, v[0:1] sc0 sc1
	s_waitcnt vmcnt(0) lgkmcnt(0)
	buffer_inv sc0 sc1
	v_cmp_eq_u32_e32 vcc, 0, v0
	s_and_b64 vcc, vcc, exec
	s_or_b64 s[48:49], s[48:49], vcc
.LBB4_47:                               ;   in Loop: Header=BB4_45 Depth=2
	s_andn2_b64 s[46:47], s[46:47], exec
	s_and_b64 s[50:51], s[50:51], exec
	s_mov_b64 vcc, -1
	s_or_b64 s[46:47], s[46:47], s[50:51]
	s_and_saveexec_b64 s[50:51], s[48:49]
	s_cbranch_execz .LBB4_44
; %bb.48:                               ;   in Loop: Header=BB4_45 Depth=2
	s_sleep 1
	s_trap 2
	ds_read_b64 v[0:1], v0
	s_andn2_b64 s[46:47], s[46:47], exec
	s_waitcnt lgkmcnt(0)
	v_cmp_ge_u64_e32 vcc, v[0:1], v[52:53]
	s_orn2_b64 vcc, vcc, exec
	s_branch .LBB4_44
.LBB4_49:                               ;   in Loop: Header=BB4_21 Depth=1
	s_or_b64 exec, exec, s[42:43]
	s_and_saveexec_b64 vcc, s[44:45]
	s_xor_b64 vcc, exec, vcc
	s_cbranch_execz .LBB4_51
; %bb.50:                               ;   in Loop: Header=BB4_21 Depth=1
	v_mov_b32_e32 v0, 1
	ds_write_b32 v0, v0
	s_trap 2
.LBB4_51:                               ;   in Loop: Header=BB4_21 Depth=1
	s_or_b64 exec, exec, s[22:23]
	;;#ASMSTART
	s_wakeup
	;;#ASMEND
.LBB4_52:                               ;   in Loop: Header=BB4_21 Depth=1
	s_or_b64 exec, exec, s[20:21]
.LBB4_53:                               ;   in Loop: Header=BB4_21 Depth=1
	s_andn2_saveexec_b64 s[18:19], s[18:19]
	s_cbranch_execz .LBB4_55
; %bb.54:                               ;   in Loop: Header=BB4_21 Depth=1
	s_waitcnt lgkmcnt(0)
	s_barrier
.LBB4_55:                               ;   in Loop: Header=BB4_21 Depth=1
	s_or_b64 exec, exec, s[18:19]
.LBB4_56:                               ;   in Loop: Header=BB4_21 Depth=1
	s_or_b64 exec, exec, s[16:17]
	v_accvgpr_read_b32 v0, a22
	v_accvgpr_read_b32 v1, a23
	v_sub_u32_e32 v17, v2, v0
	v_cmp_lt_i32_e64 s[16:17], 0, v17
	v_and_b32_e32 v1, 7, v42
	v_mov_b32_e32 v0, v24
	s_and_saveexec_b64 s[18:19], s[16:17]
	s_cbranch_execz .LBB4_64
; %bb.57:                               ;   in Loop: Header=BB4_21 Depth=1
	v_accvgpr_read_b32 v4, a28
	v_accvgpr_read_b32 v20, a32
	s_waitcnt vmcnt(0) lgkmcnt(0)
	v_ashrrev_i32_e32 v0, 31, v6
	v_accvgpr_read_b32 v5, a29
	v_accvgpr_read_b32 v21, a33
	v_mad_u64_u32 v[4:5], s[20:21], v20, v6, v[4:5]
	v_mul_lo_u32 v7, v21, v6
	v_mul_lo_u32 v0, v20, v0
	;; [unrolled: 1-line block ×3, first 2 shown]
	v_add3_u32 v5, v7, v5, v0
	v_accvgpr_read_b32 v0, a34
	v_accvgpr_read_b32 v7, a36
	;; [unrolled: 1-line block ×3, first 2 shown]
	v_ashrrev_i32_e32 v9, 31, v8
	v_mov_b32_e32 v2, v55
	v_mov_b32_e32 v3, v42
	v_mad_u64_u32 v[6:7], s[20:21], v7, v6, v[0:1]
	v_accvgpr_read_b32 v21, a39
	v_lshl_add_u64 v[2:3], v[2:3], 0, s[30:31]
	v_lshl_add_u64 v[8:9], v[8:9], 4, v[20:21]
	s_mov_b64 s[20:21], 0
	v_mov_b32_e32 v7, v17
	v_mov_b32_e32 v0, v24
	s_branch .LBB4_59
.LBB4_58:                               ;   in Loop: Header=BB4_59 Depth=2
	s_or_b64 exec, exec, s[22:23]
	s_waitcnt vmcnt(0)
	v_alignbit_b32 v20, v25, v23, v6
	v_alignbit_b32 v21, v31, v25, v6
	v_sub_u32_e32 v7, v7, v56
	v_or_b32_e32 v44, v2, v20
	v_or_b32_e32 v46, v2, v21
	v_mov_b32_e32 v45, v3
	v_mov_b32_e32 v47, v3
	v_accvgpr_read_b32 v20, a37
	v_cmp_gt_i32_e32 vcc, 1, v7
	global_store_dwordx4 v[8:9], v[44:47], off
	v_add_u32_e32 v0, v0, v16
	v_lshl_add_u64 v[4:5], v[4:5], 0, v[60:61]
	v_add_u32_e32 v6, v6, v20
	s_or_b64 s[20:21], vcc, s[20:21]
	v_lshl_add_u64 v[8:9], v[8:9], 0, v[58:59]
	s_andn2_b64 exec, exec, s[20:21]
	s_cbranch_execz .LBB4_63
.LBB4_59:                               ;   Parent Loop BB4_21 Depth=1
                                        ; =>  This Inner Loop Header: Depth=2
	v_and_b32_e32 v20, -4, v4
	v_mov_b32_e32 v21, v5
	global_load_dword v23, v[20:21], off nt
	v_min_u32_e32 v25, 4, v7
	v_and_b32_e32 v30, 3, v4
	v_mov_b32_e32 v31, 0
	v_lshlrev_b32_e32 v54, 1, v25
	v_lshl_add_u64 v[50:51], v[30:31], 0, v[54:55]
	v_cmp_lt_u64_e32 vcc, 4, v[50:51]
	v_mov_b32_e32 v25, 0
	s_and_saveexec_b64 s[22:23], vcc
	s_cbranch_execz .LBB4_61
; %bb.60:                               ;   in Loop: Header=BB4_59 Depth=2
	global_load_dword v25, v[20:21], off offset:4 nt
.LBB4_61:                               ;   in Loop: Header=BB4_59 Depth=2
	s_or_b64 exec, exec, s[22:23]
	v_cmp_lt_u64_e32 vcc, 8, v[50:51]
	s_and_saveexec_b64 s[22:23], vcc
	s_cbranch_execz .LBB4_58
; %bb.62:                               ;   in Loop: Header=BB4_59 Depth=2
	global_load_dword v31, v[20:21], off offset:8 nt
	s_branch .LBB4_58
.LBB4_63:                               ;   in Loop: Header=BB4_21 Depth=1
	s_or_b64 exec, exec, s[20:21]
.LBB4_64:                               ;   in Loop: Header=BB4_21 Depth=1
	s_or_b64 exec, exec, s[18:19]
	v_and_b32_e32 v54, 0x7ffffff8, v42
	v_cmp_eq_u64_e32 vcc, s[40:41], v[54:55]
	v_cmp_gt_i32_e64 s[18:19], s54, v0
	s_and_b64 s[20:21], vcc, s[18:19]
	s_and_saveexec_b64 s[18:19], s[20:21]
	s_cbranch_execz .LBB4_67
; %bb.65:                               ;   in Loop: Header=BB4_21 Depth=1
	v_mul_lo_u32 v4, v1, s54
	v_ashrrev_i32_e32 v5, 31, v4
	v_ashrrev_i32_e32 v1, 31, v0
	v_lshlrev_b64 v[4:5], 4, v[4:5]
	v_mov_b32_e32 v2, v55
	v_mov_b32_e32 v3, v42
	v_lshl_add_u64 v[4:5], v[0:1], 4, v[4:5]
	v_lshl_add_u64 v[2:3], v[2:3], 0, s[30:31]
	s_waitcnt vmcnt(0) lgkmcnt(0)
	v_lshl_add_u64 v[6:7], v[32:33], 0, v[4:5]
	s_mov_b64 s[20:21], 0
.LBB4_66:                               ;   Parent Loop BB4_21 Depth=1
                                        ; =>  This Inner Loop Header: Depth=2
	v_add_u32_e32 v0, v0, v16
	v_mov_b32_e32 v4, v2
	v_mov_b32_e32 v5, v3
	v_cmp_le_i32_e32 vcc, s54, v0
	global_store_dwordx4 v[6:7], v[2:5], off
	s_or_b64 s[20:21], vcc, s[20:21]
	v_lshl_add_u64 v[6:7], v[6:7], 0, v[58:59]
	s_andn2_b64 exec, exec, s[20:21]
	s_cbranch_execnz .LBB4_66
.LBB4_67:                               ;   in Loop: Header=BB4_21 Depth=1
	s_or_b64 exec, exec, s[18:19]
	v_accvgpr_read_b32 v0, a4
	v_accvgpr_read_b32 v1, a5
	s_waitcnt vmcnt(0) lgkmcnt(0)
	v_accvgpr_read_b32 v6, a6
	v_lshl_add_u64 v[2:3], v[10:11], 0, v[0:1]
	s_andn2_b64 vcc, exec, s[38:39]
	v_lshl_add_u64 v[30:31], v[42:43], 0, 1
	v_accvgpr_read_b32 v7, a7
	s_cbranch_vccnz .LBB4_197
; %bb.68:                               ;   in Loop: Header=BB4_21 Depth=1
	v_accvgpr_read_b32 v0, a24
	v_accvgpr_read_b32 v1, a25
	v_accvgpr_write_b32 a43, v3
	v_accvgpr_write_b32 a42, v2
	v_lshl_add_u64 v[20:21], v[2:3], 1, v[0:1]
	v_add_u16_e32 v25, 1, v42
	s_mov_b32 s58, 2
	s_branch .LBB4_70
.LBB4_69:                               ;   in Loop: Header=BB4_70 Depth=2
	s_or_b64 exec, exec, s[18:19]
	s_add_i32 s58, s58, 1
	v_lshl_add_u64 v[28:29], v[28:29], 0, 1
	v_lshl_add_u64 v[30:31], v[30:31], 0, 1
	s_cmp_eq_u32 s58, s24
	v_add_u16_e32 v25, 1, v25
	s_cbranch_scc1 .LBB4_198
.LBB4_70:                               ;   Parent Loop BB4_21 Depth=1
                                        ; =>  This Loop Header: Depth=2
                                        ;       Child Loop BB4_85 Depth 3
                                        ;       Child Loop BB4_101 Depth 3
	;; [unrolled: 1-line block ×3, first 2 shown]
                                        ;         Child Loop BB4_124 Depth 4
                                        ;       Child Loop BB4_186 Depth 3
                                        ;       Child Loop BB4_78 Depth 3
	s_sub_i32 s18, s24, s58
	s_ashr_i32 s19, s18, 31
	s_lshl_b64 s[18:19], s[18:19], 2
	v_lshl_add_u64 v[0:1], v[18:19], 0, s[18:19]
	s_waitcnt vmcnt(0) lgkmcnt(0)
	flat_load_dword v2, v[0:1]
	s_and_saveexec_b64 s[18:19], s[2:3]
	s_cbranch_execnz .LBB4_79
; %bb.71:                               ;   in Loop: Header=BB4_70 Depth=2
	s_or_b64 exec, exec, s[18:19]
	s_and_saveexec_b64 s[18:19], s[6:7]
	s_cbranch_execnz .LBB4_94
.LBB4_72:                               ;   in Loop: Header=BB4_70 Depth=2
	s_or_b64 exec, exec, s[18:19]
	v_mov_b32_e32 v42, v24
	s_and_saveexec_b64 s[42:43], s[16:17]
	s_cbranch_execnz .LBB4_112
.LBB4_73:                               ;   in Loop: Header=BB4_70 Depth=2
	s_or_b64 exec, exec, s[42:43]
	s_and_saveexec_b64 s[18:19], s[6:7]
	s_cbranch_execnz .LBB4_179
.LBB4_74:                               ;   in Loop: Header=BB4_70 Depth=2
	s_or_b64 exec, exec, s[18:19]
	s_and_saveexec_b64 s[18:19], s[12:13]
	s_cbranch_execz .LBB4_76
.LBB4_75:                               ;   in Loop: Header=BB4_70 Depth=2
	v_accvgpr_read_b32 v0, a16
	v_lshl_add_u64 v[34:35], v[34:35], 0, 1
	v_accvgpr_read_b32 v1, a17
	flat_store_dwordx2 v[0:1], v[34:35] sc0 sc1
.LBB4_76:                               ;   in Loop: Header=BB4_70 Depth=2
	s_or_b64 exec, exec, s[18:19]
	v_and_b32_e32 v54, 0x7ffffff8, v30
	v_cmp_eq_u64_e32 vcc, s[40:41], v[54:55]
	v_cmp_gt_i32_e64 s[18:19], s54, v42
	s_and_b64 s[20:21], vcc, s[18:19]
	s_and_saveexec_b64 s[18:19], s[20:21]
	s_cbranch_execz .LBB4_69
; %bb.77:                               ;   in Loop: Header=BB4_70 Depth=2
	v_and_b32_e32 v0, 7, v25
	v_mul_lo_u32 v0, s54, v0
	v_ashrrev_i32_e32 v1, 31, v0
	v_lshlrev_b64 v[0:1], 4, v[0:1]
	v_ashrrev_i32_e32 v43, 31, v42
	s_waitcnt vmcnt(0) lgkmcnt(0)
	v_mov_b32_e32 v2, v55
	v_mov_b32_e32 v3, v30
	v_lshl_add_u64 v[0:1], v[42:43], 4, v[0:1]
	v_lshl_add_u64 v[2:3], v[2:3], 0, s[30:31]
	;; [unrolled: 1-line block ×3, first 2 shown]
	s_mov_b64 s[20:21], 0
.LBB4_78:                               ;   Parent Loop BB4_21 Depth=1
                                        ;     Parent Loop BB4_70 Depth=2
                                        ; =>    This Inner Loop Header: Depth=3
	v_add_u32_e32 v42, v42, v16
	v_mov_b32_e32 v4, v2
	v_mov_b32_e32 v5, v3
	v_cmp_le_i32_e32 vcc, s54, v42
	global_store_dwordx4 v[0:1], v[2:5], off
	s_or_b64 s[20:21], vcc, s[20:21]
	v_lshl_add_u64 v[0:1], v[0:1], 0, v[58:59]
	s_andn2_b64 exec, exec, s[20:21]
	s_cbranch_execnz .LBB4_78
	s_branch .LBB4_69
.LBB4_79:                               ;   in Loop: Header=BB4_70 Depth=2
	v_lshl_add_u64 v[0:1], v[14:15], 0, 1
	v_lshl_add_u64 v[4:5], v[48:49], 0, 8
	v_cmp_lt_u64_e32 vcc, v[4:5], v[0:1]
	s_and_saveexec_b64 s[20:21], vcc
	s_cbranch_execz .LBB4_91
; %bb.80:                               ;   in Loop: Header=BB4_70 Depth=2
	s_sleep 1
	flat_load_dwordx2 v[48:49], v[36:37] sc1
	v_cmp_eq_u32_e32 vcc, 0, v22
	s_and_saveexec_b64 s[22:23], vcc
	s_cbranch_execz .LBB4_90
; %bb.81:                               ;   in Loop: Header=BB4_70 Depth=2
	v_cndmask_b32_e64 v3, 0, 1, vcc
	s_mov_b64 s[42:43], 0
                                        ; implicit-def: $sgpr44_sgpr45
	s_branch .LBB4_85
.LBB4_82:                               ;   in Loop: Header=BB4_85 Depth=3
	s_or_b64 exec, exec, s[52:53]
	s_orn2_b64 s[50:51], s[50:51], exec
.LBB4_83:                               ;   in Loop: Header=BB4_85 Depth=3
	s_or_b64 exec, exec, s[48:49]
	s_xor_b64 vcc, s[50:51], -1
	s_andn2_b64 s[44:45], s[44:45], exec
	s_and_b64 vcc, vcc, exec
	s_or_b64 s[44:45], s[44:45], vcc
.LBB4_84:                               ;   in Loop: Header=BB4_85 Depth=3
	s_or_b64 exec, exec, s[46:47]
	s_and_b64 vcc, exec, s[44:45]
	s_or_b64 s[42:43], vcc, s[42:43]
	s_andn2_b64 exec, exec, s[42:43]
	s_cbranch_execz .LBB4_89
.LBB4_85:                               ;   Parent Loop BB4_21 Depth=1
                                        ;     Parent Loop BB4_70 Depth=2
                                        ; =>    This Inner Loop Header: Depth=3
	s_waitcnt vmcnt(0) lgkmcnt(0)
	v_lshl_add_u64 v[4:5], v[48:49], 0, 8
	v_cmp_lt_u64_e32 vcc, v[4:5], v[0:1]
	v_mov_b32_e32 v22, 0
	s_or_b64 s[44:45], s[44:45], exec
	s_and_saveexec_b64 s[46:47], vcc
	s_cbranch_execz .LBB4_84
; %bb.86:                               ;   in Loop: Header=BB4_85 Depth=3
	s_sleep 1
	flat_load_dwordx2 v[48:49], v[36:37] sc1
	v_add_u32_e32 v3, 1, v3
	v_cmp_eq_u32_e32 vcc, s55, v3
	s_mov_b64 s[50:51], -1
	v_mov_b32_e32 v22, 0
	s_and_saveexec_b64 s[48:49], vcc
	s_cbranch_execz .LBB4_83
; %bb.87:                               ;   in Loop: Header=BB4_85 Depth=3
	s_trap 2
	ds_read_b64 v[4:5], v0
	v_mov_b32_e32 v3, 0
	v_mov_b32_e32 v22, 0
	s_waitcnt vmcnt(0) lgkmcnt(0)
	flat_load_dword v4, v[4:5] sc0 sc1
	s_waitcnt vmcnt(0) lgkmcnt(0)
	buffer_inv sc0 sc1
	v_cmp_ne_u32_e32 vcc, 0, v4
	s_and_saveexec_b64 s[52:53], vcc
	s_cbranch_execz .LBB4_82
; %bb.88:                               ;   in Loop: Header=BB4_85 Depth=3
	v_mov_b32_e32 v22, 1
	s_xor_b64 s[50:51], exec, -1
	ds_write_b32 v0, v4
	s_trap 2
	s_branch .LBB4_82
.LBB4_89:                               ;   in Loop: Header=BB4_70 Depth=2
	s_or_b64 exec, exec, s[42:43]
.LBB4_90:                               ;   in Loop: Header=BB4_70 Depth=2
	s_or_b64 exec, exec, s[22:23]
.LBB4_91:                               ;   in Loop: Header=BB4_70 Depth=2
	s_or_b64 exec, exec, s[20:21]
	s_and_saveexec_b64 s[20:21], s[4:5]
	s_cbranch_execz .LBB4_93
; %bb.92:                               ;   in Loop: Header=BB4_70 Depth=2
	v_and_b32_e32 v54, 0x7ffffff8, v14
	v_mov_b32_e32 v3, s25
	v_cmp_eq_u64_e32 vcc, s[40:41], v[54:55]
	v_accvgpr_read_b32 v4, a40
	s_nop 0
	v_cndmask_b32_e32 v4, v4, v3, vcc
	v_and_b32_e32 v3, 7, v14
	v_ashrrev_i32_e32 v5, 31, v4
	v_mad_u64_u32 v[6:7], s[22:23], v3, 24, v[12:13]
	flat_store_dwordx2 v[6:7], v[4:5] offset:8 sc0 sc1
	s_waitcnt vmcnt(0)
	v_accvgpr_read_b32 v6, a6
	v_accvgpr_read_b32 v7, a7
.LBB4_93:                               ;   in Loop: Header=BB4_70 Depth=2
	s_or_b64 exec, exec, s[20:21]
	v_mov_b64_e32 v[14:15], v[0:1]
	s_or_b64 exec, exec, s[18:19]
	s_and_saveexec_b64 s[18:19], s[6:7]
	s_cbranch_execz .LBB4_72
.LBB4_94:                               ;   in Loop: Header=BB4_70 Depth=2
	s_and_saveexec_b64 s[20:21], s[36:37]
	s_xor_b64 s[20:21], exec, s[20:21]
	s_cbranch_execz .LBB4_109
; %bb.95:                               ;   in Loop: Header=BB4_70 Depth=2
	s_and_saveexec_b64 s[22:23], s[8:9]
	s_cbranch_execz .LBB4_108
; %bb.96:                               ;   in Loop: Header=BB4_70 Depth=2
	s_mov_b64 s[44:45], exec
	v_mbcnt_lo_u32_b32 v0, s44, 0
	v_mbcnt_hi_u32_b32 v0, s45, v0
	v_cmp_eq_u32_e32 vcc, 0, v0
	s_waitcnt lgkmcnt(0)
	s_and_saveexec_b64 s[42:43], vcc
	s_cbranch_execz .LBB4_98
; %bb.97:                               ;   in Loop: Header=BB4_70 Depth=2
	s_bcnt1_i32_b64 vcc_lo, s[44:45]
	v_mov_b32_e32 v54, vcc_lo
	ds_add_u64 v0, v[54:55]
	s_trap 2
.LBB4_98:                               ;   in Loop: Header=BB4_70 Depth=2
	s_or_b64 exec, exec, s[42:43]
	s_trap 2
	ds_read_b64 v[0:1], v0
	v_accvgpr_read_b32 v4, a20
	v_accvgpr_read_b32 v5, a21
	v_lshl_add_u64 v[52:53], v[52:53], 0, v[4:5]
	s_waitcnt lgkmcnt(0)
	v_cmp_lt_u64_e32 vcc, v[0:1], v[52:53]
	s_and_saveexec_b64 s[42:43], vcc
	s_cbranch_execz .LBB4_107
; %bb.99:                               ;   in Loop: Header=BB4_70 Depth=2
	s_mov_b32 s59, 0
	s_mov_b64 s[44:45], 0
                                        ; implicit-def: $sgpr46_sgpr47
                                        ; implicit-def: $sgpr48_sgpr49
	s_branch .LBB4_101
.LBB4_100:                              ;   in Loop: Header=BB4_101 Depth=3
	s_or_b64 exec, exec, s[52:53]
	s_and_b64 vcc, exec, vcc
	s_or_b64 s[44:45], vcc, s[44:45]
	s_andn2_b64 vcc, s[46:47], exec
	s_and_b64 s[46:47], s[48:49], exec
	s_or_b64 s[46:47], vcc, s[46:47]
	s_andn2_b64 exec, exec, s[44:45]
	s_cbranch_execz .LBB4_105
.LBB4_101:                              ;   Parent Loop BB4_21 Depth=1
                                        ;     Parent Loop BB4_70 Depth=2
                                        ; =>    This Inner Loop Header: Depth=3
	s_add_i32 s59, s59, 1
	s_cmpk_lg_i32 s59, 0x2710
	s_cselect_b64 s[50:51], -1, 0
	s_and_b64 vcc, exec, s[50:51]
                                        ; implicit-def: $sgpr52_sgpr53
	s_cbranch_vccnz .LBB4_103
; %bb.102:                              ;   in Loop: Header=BB4_101 Depth=3
	s_trap 2
	ds_read_b64 v[0:1], v0
	s_andn2_b64 s[50:51], s[50:51], exec
	s_mov_b32 s59, 0
	s_mov_b64 s[52:53], -1
	s_waitcnt vmcnt(0) lgkmcnt(0)
	flat_load_dword v0, v[0:1] sc0 sc1
	s_waitcnt vmcnt(0) lgkmcnt(0)
	buffer_inv sc0 sc1
	v_cmp_eq_u32_e32 vcc, 0, v0
	s_and_b64 vcc, vcc, exec
	s_or_b64 s[50:51], s[50:51], vcc
.LBB4_103:                              ;   in Loop: Header=BB4_101 Depth=3
	s_andn2_b64 s[48:49], s[48:49], exec
	s_and_b64 s[52:53], s[52:53], exec
	s_mov_b64 vcc, -1
	s_or_b64 s[48:49], s[48:49], s[52:53]
	s_and_saveexec_b64 s[52:53], s[50:51]
	s_cbranch_execz .LBB4_100
; %bb.104:                              ;   in Loop: Header=BB4_101 Depth=3
	s_sleep 1
	s_trap 2
	ds_read_b64 v[0:1], v0
	s_andn2_b64 s[48:49], s[48:49], exec
	s_waitcnt lgkmcnt(0)
	v_cmp_ge_u64_e32 vcc, v[0:1], v[52:53]
	s_orn2_b64 vcc, vcc, exec
	s_branch .LBB4_100
.LBB4_105:                              ;   in Loop: Header=BB4_70 Depth=2
	s_or_b64 exec, exec, s[44:45]
	s_and_saveexec_b64 vcc, s[46:47]
	s_xor_b64 vcc, exec, vcc
	s_cbranch_execz .LBB4_107
; %bb.106:                              ;   in Loop: Header=BB4_70 Depth=2
	v_mov_b32_e32 v0, 1
	ds_write_b32 v0, v0
	s_trap 2
.LBB4_107:                              ;   in Loop: Header=BB4_70 Depth=2
	s_or_b64 exec, exec, s[42:43]
	;;#ASMSTART
	s_wakeup
	;;#ASMEND
.LBB4_108:                              ;   in Loop: Header=BB4_70 Depth=2
	s_or_b64 exec, exec, s[22:23]
.LBB4_109:                              ;   in Loop: Header=BB4_70 Depth=2
	s_andn2_saveexec_b64 s[20:21], s[20:21]
	s_cbranch_execz .LBB4_111
; %bb.110:                              ;   in Loop: Header=BB4_70 Depth=2
	s_waitcnt lgkmcnt(0)
	s_barrier
.LBB4_111:                              ;   in Loop: Header=BB4_70 Depth=2
	s_or_b64 exec, exec, s[20:21]
	s_or_b64 exec, exec, s[18:19]
	v_mov_b32_e32 v42, v24
	s_and_saveexec_b64 s[42:43], s[16:17]
	s_cbranch_execz .LBB4_73
.LBB4_112:                              ;   in Loop: Header=BB4_70 Depth=2
	s_waitcnt vmcnt(0) lgkmcnt(0)
	v_ashrrev_i32_e32 v0, 31, v2
	v_mul_lo_u32 v3, v41, v2
	v_mul_lo_u32 v4, v40, v0
	v_mad_u64_u32 v[0:1], s[18:19], v40, v2, 0
	v_and_b32_e32 v2, 7, v28
	v_add3_u32 v1, v1, v4, v3
	v_mul_lo_u32 v2, v2, s54
	v_accvgpr_read_b32 v4, a14
	v_ashrrev_i32_e32 v3, 31, v2
	v_accvgpr_read_b32 v5, a15
	v_lshl_add_u64 v[44:45], v[2:3], 4, v[4:5]
	v_and_b32_e32 v2, 7, v30
	v_mul_lo_u32 v2, v2, s54
	v_ashrrev_i32_e32 v3, 31, v2
	v_lshl_add_u64 v[50:51], v[2:3], 4, v[32:33]
	v_mov_b32_e32 v2, v55
	v_mov_b32_e32 v3, v30
	v_lshl_add_u64 v[0:1], v[0:1], 1, v[20:21]
	v_add_u32_e32 v26, 1, v28
	v_lshl_add_u64 v[6:7], v[2:3], 0, s[30:31]
	s_mov_b64 s[44:45], 0
	v_mov_b32_e32 v27, v17
	v_mov_b32_e32 v42, v24
	s_branch .LBB4_116
.LBB4_113:                              ;   in Loop: Header=BB4_116 Depth=3
	s_or_b64 exec, exec, s[46:47]
	v_mov_b32_e32 v4, v9
.LBB4_114:                              ;   in Loop: Header=BB4_116 Depth=3
	s_or_b64 exec, exec, s[48:49]
.LBB4_115:                              ;   in Loop: Header=BB4_116 Depth=3
	s_or_b64 exec, exec, s[22:23]
	v_sub_u32_e32 v27, v27, v56
	v_lshlrev_b32_e32 v2, 16, v2
	v_and_b32_e32 v23, 0xffff, v3
	v_and_b32_e32 v5, 0xffff, v5
	v_lshlrev_b32_e32 v4, 16, v4
	v_or3_b32 v3, 0, 0, v7
	v_cmp_gt_i32_e32 vcc, 1, v27
	v_lshl_add_u64 v[0:1], v[56:57], 1, v[0:1]
	v_lshl_add_u64 v[8:9], v[42:43], 4, v[50:51]
	v_or3_b32 v2, v2, v23, v6
	v_or3_b32 v4, v4, v5, v6
	v_mov_b32_e32 v5, v3
	s_or_b64 s[44:45], vcc, s[44:45]
	v_add_u32_e32 v42, v42, v16
	global_store_dwordx4 v[8:9], v[2:5], off
	s_andn2_b64 exec, exec, s[44:45]
	s_cbranch_execz .LBB4_178
.LBB4_116:                              ;   Parent Loop BB4_21 Depth=1
                                        ;     Parent Loop BB4_70 Depth=2
                                        ; =>    This Loop Header: Depth=3
                                        ;         Child Loop BB4_124 Depth 4
	v_and_b32_e32 v2, -4, v0
	v_mov_b32_e32 v3, v1
	global_load_dword v23, v[2:3], off nt
	v_min_u32_e32 v4, 4, v27
	v_and_b32_e32 v46, 3, v0
	v_mov_b32_e32 v47, 0
	v_lshlrev_b32_e32 v54, 1, v4
	v_lshl_add_u64 v[4:5], v[46:47], 0, v[54:55]
	v_cmp_lt_u64_e32 vcc, 4, v[4:5]
	v_mov_b32_e32 v54, 0
	s_and_saveexec_b64 s[18:19], vcc
	s_cbranch_execz .LBB4_118
; %bb.117:                              ;   in Loop: Header=BB4_116 Depth=3
	global_load_dword v54, v[2:3], off offset:4 nt
.LBB4_118:                              ;   in Loop: Header=BB4_116 Depth=3
	s_or_b64 exec, exec, s[18:19]
	v_cmp_lt_u64_e32 vcc, 8, v[4:5]
	s_and_saveexec_b64 s[18:19], vcc
	s_cbranch_execz .LBB4_120
; %bb.119:                              ;   in Loop: Header=BB4_116 Depth=3
	global_load_dword v47, v[2:3], off offset:8 nt
.LBB4_120:                              ;   in Loop: Header=BB4_116 Depth=3
	s_or_b64 exec, exec, s[18:19]
	v_ashrrev_i32_e32 v43, 31, v42
	v_lshl_add_u64 v[8:9], v[42:43], 4, v[44:45]
	global_load_dwordx4 v[2:5], v[8:9], off nt
	v_cmp_eq_u32_e32 vcc, 0, v22
	s_and_saveexec_b64 s[20:21], vcc
	s_cbranch_execz .LBB4_132
; %bb.121:                              ;   in Loop: Header=BB4_116 Depth=3
	s_waitcnt vmcnt(0)
	v_cmp_ne_u32_e32 vcc, v26, v3
	v_cmp_ne_u32_e64 s[18:19], v26, v5
	s_or_b64 s[18:19], vcc, s[18:19]
	v_mov_b32_e32 v22, 0
	s_and_saveexec_b64 s[22:23], s[18:19]
	s_cbranch_execz .LBB4_131
; %bb.122:                              ;   in Loop: Header=BB4_116 Depth=3
	s_mov_b32 s50, 1
	s_mov_b64 s[46:47], 0
	v_mov_b32_e32 v22, 0
	s_branch .LBB4_124
.LBB4_123:                              ;   in Loop: Header=BB4_124 Depth=4
	s_or_b64 exec, exec, s[48:49]
	s_and_b64 s[18:19], exec, s[18:19]
	s_or_b64 s[46:47], s[18:19], s[46:47]
	s_andn2_b64 exec, exec, s[46:47]
	s_cbranch_execz .LBB4_130
.LBB4_124:                              ;   Parent Loop BB4_21 Depth=1
                                        ;     Parent Loop BB4_70 Depth=2
                                        ;       Parent Loop BB4_116 Depth=3
                                        ; =>      This Inner Loop Header: Depth=4
	global_load_dwordx4 v[2:5], v[8:9], off nt
	s_add_i32 s50, s50, 1
	s_cmpk_lg_i32 s50, 0x2710
	s_cbranch_scc1 .LBB4_128
; %bb.125:                              ;   in Loop: Header=BB4_124 Depth=4
	s_trap 2
	ds_read_b64 v[38:39], v0
	s_waitcnt vmcnt(0) lgkmcnt(0)
	flat_load_dword v46, v[38:39] sc0 sc1
	s_waitcnt vmcnt(0) lgkmcnt(0)
	buffer_inv sc0 sc1
	v_cmp_ne_u32_e32 vcc, 0, v46
	s_and_saveexec_b64 s[18:19], vcc
	s_cbranch_execz .LBB4_127
; %bb.126:                              ;   in Loop: Header=BB4_124 Depth=4
	v_mov_b32_e32 v22, 1
	ds_write_b32 v0, v46
	s_trap 2
.LBB4_127:                              ;   in Loop: Header=BB4_124 Depth=4
	s_or_b64 exec, exec, s[18:19]
	s_mov_b32 s50, 0
	v_mov_b32_e32 v46, v22
	v_cmp_eq_u32_e32 vcc, 0, v46
	s_mov_b64 s[18:19], -1
	s_and_saveexec_b64 s[48:49], vcc
	s_cbranch_execz .LBB4_123
	s_branch .LBB4_129
.LBB4_128:                              ;   in Loop: Header=BB4_124 Depth=4
	v_mov_b32_e32 v46, 0
	v_cmp_eq_u32_e32 vcc, 0, v46
	s_mov_b64 s[18:19], -1
	s_and_saveexec_b64 s[48:49], vcc
	s_cbranch_execz .LBB4_123
.LBB4_129:                              ;   in Loop: Header=BB4_124 Depth=4
	s_waitcnt vmcnt(0)
	v_cmp_eq_u32_e32 vcc, v26, v3
	v_cmp_eq_u32_e64 s[18:19], v26, v5
	s_and_b64 s[18:19], vcc, s[18:19]
	s_orn2_b64 s[18:19], s[18:19], exec
	s_branch .LBB4_123
.LBB4_130:                              ;   in Loop: Header=BB4_116 Depth=3
	s_or_b64 exec, exec, s[46:47]
.LBB4_131:                              ;   in Loop: Header=BB4_116 Depth=3
	s_or_b64 exec, exec, s[22:23]
.LBB4_132:                              ;   in Loop: Header=BB4_116 Depth=3
	s_or_b64 exec, exec, s[20:21]
	s_waitcnt vmcnt(0)
	v_lshlrev_b32_e32 v5, 3, v0
	v_alignbit_b32 v8, v54, v23, v5
	v_and_b32_e32 v3, 0x7fff, v2
	v_and_b32_e32 v9, 0x7fff, v8
	v_cmp_lt_u16_e32 vcc, s56, v3
	v_cmp_gt_u16_e64 s[18:19], s57, v9
	s_and_b64 s[20:21], s[18:19], vcc
	s_xor_b64 s[46:47], s[20:21], -1
                                        ; implicit-def: $vgpr3
	s_and_saveexec_b64 s[20:21], s[10:11]
	s_xor_b64 s[48:49], exec, s[20:21]
	s_cbranch_execz .LBB4_138
; %bb.133:                              ;   in Loop: Header=BB4_116 Depth=3
	v_mov_b32_e32 v3, v8
	s_and_saveexec_b64 s[50:51], s[46:47]
	s_cbranch_execz .LBB4_137
; %bb.134:                              ;   in Loop: Header=BB4_116 Depth=3
	s_or_b64 s[20:21], s[18:19], vcc
	v_mov_b32_e32 v3, v2
	s_and_saveexec_b64 s[52:53], s[20:21]
; %bb.135:                              ;   in Loop: Header=BB4_116 Depth=3
	v_cmp_lt_u16_e64 s[20:21], s56, v9
	v_cmp_gt_f16_e64 s[22:23], v2, v8
	s_and_b64 s[20:21], s[20:21], vcc
	s_nop 0
	v_cndmask_b32_e64 v3, v8, v2, s[22:23]
	v_cndmask_b32_e64 v3, v3, v62, s[20:21]
; %bb.136:                              ;   in Loop: Header=BB4_116 Depth=3
	s_or_b64 exec, exec, s[52:53]
.LBB4_137:                              ;   in Loop: Header=BB4_116 Depth=3
	s_or_b64 exec, exec, s[50:51]
                                        ; implicit-def: $vgpr9
.LBB4_138:                              ;   in Loop: Header=BB4_116 Depth=3
	s_andn2_saveexec_b64 s[22:23], s[48:49]
	s_cbranch_execz .LBB4_144
; %bb.139:                              ;   in Loop: Header=BB4_116 Depth=3
	v_mov_b32_e32 v3, v8
	s_and_saveexec_b64 s[48:49], s[46:47]
	s_cbranch_execz .LBB4_143
; %bb.140:                              ;   in Loop: Header=BB4_116 Depth=3
	s_or_b64 s[18:19], s[18:19], vcc
	v_mov_b32_e32 v3, v2
	s_and_saveexec_b64 s[46:47], s[18:19]
; %bb.141:                              ;   in Loop: Header=BB4_116 Depth=3
	v_cmp_lt_u16_e64 s[18:19], s56, v9
	v_cmp_gt_f16_e64 s[20:21], v2, v8
	s_and_b64 vcc, s[18:19], vcc
	s_nop 0
	v_cndmask_b32_e64 v3, v2, v8, s[20:21]
	v_cndmask_b32_e32 v3, v3, v62, vcc
; %bb.142:                              ;   in Loop: Header=BB4_116 Depth=3
	s_or_b64 exec, exec, s[46:47]
.LBB4_143:                              ;   in Loop: Header=BB4_116 Depth=3
	s_or_b64 exec, exec, s[48:49]
.LBB4_144:                              ;   in Loop: Header=BB4_116 Depth=3
	s_or_b64 exec, exec, s[22:23]
	v_lshrrev_b32_e32 v9, 16, v2
	v_lshrrev_b32_e32 v2, 16, v8
	v_and_b32_e32 v8, 0x7fff, v9
	v_cmp_lt_u16_e32 vcc, s56, v8
	v_and_b32_e32 v8, 0x7fff, v2
	v_cmp_gt_u16_e64 s[18:19], s57, v8
	s_and_b64 s[20:21], s[18:19], vcc
	s_xor_b64 s[46:47], s[20:21], -1
	s_and_saveexec_b64 s[20:21], s[10:11]
	s_xor_b64 s[48:49], exec, s[20:21]
	s_cbranch_execz .LBB4_150
; %bb.145:                              ;   in Loop: Header=BB4_116 Depth=3
	s_and_saveexec_b64 s[50:51], s[46:47]
	s_cbranch_execz .LBB4_149
; %bb.146:                              ;   in Loop: Header=BB4_116 Depth=3
	s_or_b64 s[20:21], s[18:19], vcc
	s_and_saveexec_b64 s[52:53], s[20:21]
; %bb.147:                              ;   in Loop: Header=BB4_116 Depth=3
	v_cmp_lt_u16_e64 s[20:21], s56, v8
	v_cmp_gt_f16_e64 s[22:23], v9, v2
	s_and_b64 s[20:21], s[20:21], vcc
	s_nop 0
	v_cndmask_b32_e64 v2, v2, v9, s[22:23]
	v_cndmask_b32_e64 v9, v2, v62, s[20:21]
; %bb.148:                              ;   in Loop: Header=BB4_116 Depth=3
	s_or_b64 exec, exec, s[52:53]
	v_mov_b32_e32 v2, v9
.LBB4_149:                              ;   in Loop: Header=BB4_116 Depth=3
	s_or_b64 exec, exec, s[50:51]
                                        ; implicit-def: $vgpr9
                                        ; implicit-def: $vgpr8
.LBB4_150:                              ;   in Loop: Header=BB4_116 Depth=3
	s_andn2_saveexec_b64 s[22:23], s[48:49]
	s_cbranch_execz .LBB4_156
; %bb.151:                              ;   in Loop: Header=BB4_116 Depth=3
	s_and_saveexec_b64 s[48:49], s[46:47]
	s_cbranch_execz .LBB4_155
; %bb.152:                              ;   in Loop: Header=BB4_116 Depth=3
	s_or_b64 s[18:19], s[18:19], vcc
	s_and_saveexec_b64 s[46:47], s[18:19]
; %bb.153:                              ;   in Loop: Header=BB4_116 Depth=3
	v_cmp_lt_u16_e64 s[18:19], s56, v8
	v_cmp_gt_f16_e64 s[20:21], v9, v2
	s_and_b64 vcc, s[18:19], vcc
	s_nop 0
	v_cndmask_b32_e64 v2, v9, v2, s[20:21]
	v_cndmask_b32_e32 v9, v2, v62, vcc
; %bb.154:                              ;   in Loop: Header=BB4_116 Depth=3
	s_or_b64 exec, exec, s[46:47]
	v_mov_b32_e32 v2, v9
.LBB4_155:                              ;   in Loop: Header=BB4_116 Depth=3
	s_or_b64 exec, exec, s[48:49]
.LBB4_156:                              ;   in Loop: Header=BB4_116 Depth=3
	s_or_b64 exec, exec, s[22:23]
	v_alignbit_b32 v8, v47, v54, v5
	v_and_b32_e32 v5, 0x7fff, v4
	v_and_b32_e32 v9, 0x7fff, v8
	v_cmp_lt_u16_e32 vcc, s56, v5
	v_cmp_gt_u16_e64 s[18:19], s57, v9
	s_and_b64 s[20:21], s[18:19], vcc
	s_xor_b64 s[46:47], s[20:21], -1
                                        ; implicit-def: $vgpr5
	s_and_saveexec_b64 s[20:21], s[10:11]
	s_xor_b64 s[48:49], exec, s[20:21]
	s_cbranch_execz .LBB4_162
; %bb.157:                              ;   in Loop: Header=BB4_116 Depth=3
	v_mov_b32_e32 v5, v8
	s_and_saveexec_b64 s[50:51], s[46:47]
	s_cbranch_execz .LBB4_161
; %bb.158:                              ;   in Loop: Header=BB4_116 Depth=3
	s_or_b64 s[20:21], s[18:19], vcc
	v_mov_b32_e32 v5, v4
	s_and_saveexec_b64 s[52:53], s[20:21]
; %bb.159:                              ;   in Loop: Header=BB4_116 Depth=3
	v_cmp_lt_u16_e64 s[20:21], s56, v9
	v_cmp_gt_f16_e64 s[22:23], v4, v8
	s_and_b64 s[20:21], s[20:21], vcc
	s_nop 0
	v_cndmask_b32_e64 v5, v8, v4, s[22:23]
	v_cndmask_b32_e64 v5, v5, v62, s[20:21]
; %bb.160:                              ;   in Loop: Header=BB4_116 Depth=3
	s_or_b64 exec, exec, s[52:53]
.LBB4_161:                              ;   in Loop: Header=BB4_116 Depth=3
	s_or_b64 exec, exec, s[50:51]
                                        ; implicit-def: $vgpr9
.LBB4_162:                              ;   in Loop: Header=BB4_116 Depth=3
	s_andn2_saveexec_b64 s[22:23], s[48:49]
	s_cbranch_execz .LBB4_168
; %bb.163:                              ;   in Loop: Header=BB4_116 Depth=3
	v_mov_b32_e32 v5, v8
	s_and_saveexec_b64 s[48:49], s[46:47]
	s_cbranch_execz .LBB4_167
; %bb.164:                              ;   in Loop: Header=BB4_116 Depth=3
	s_or_b64 s[18:19], s[18:19], vcc
	v_mov_b32_e32 v5, v4
	s_and_saveexec_b64 s[46:47], s[18:19]
; %bb.165:                              ;   in Loop: Header=BB4_116 Depth=3
	v_cmp_lt_u16_e64 s[18:19], s56, v9
	v_cmp_gt_f16_e64 s[20:21], v4, v8
	s_and_b64 vcc, s[18:19], vcc
	s_nop 0
	v_cndmask_b32_e64 v5, v4, v8, s[20:21]
	v_cndmask_b32_e32 v5, v5, v62, vcc
; %bb.166:                              ;   in Loop: Header=BB4_116 Depth=3
	s_or_b64 exec, exec, s[46:47]
.LBB4_167:                              ;   in Loop: Header=BB4_116 Depth=3
	s_or_b64 exec, exec, s[48:49]
.LBB4_168:                              ;   in Loop: Header=BB4_116 Depth=3
	s_or_b64 exec, exec, s[22:23]
	v_lshrrev_b32_e32 v9, 16, v4
	v_lshrrev_b32_e32 v4, 16, v8
	v_and_b32_e32 v8, 0x7fff, v9
	v_cmp_lt_u16_e32 vcc, s56, v8
	v_and_b32_e32 v8, 0x7fff, v4
	v_cmp_gt_u16_e64 s[18:19], s57, v8
	s_and_b64 s[20:21], vcc, s[18:19]
	s_xor_b64 s[46:47], s[20:21], -1
	s_and_saveexec_b64 s[20:21], s[10:11]
	s_xor_b64 s[48:49], exec, s[20:21]
	s_cbranch_execz .LBB4_174
; %bb.169:                              ;   in Loop: Header=BB4_116 Depth=3
	s_and_saveexec_b64 s[50:51], s[46:47]
	s_cbranch_execz .LBB4_173
; %bb.170:                              ;   in Loop: Header=BB4_116 Depth=3
	s_or_b64 s[20:21], vcc, s[18:19]
	s_and_saveexec_b64 s[52:53], s[20:21]
; %bb.171:                              ;   in Loop: Header=BB4_116 Depth=3
	v_cmp_lt_u16_e64 s[20:21], s56, v8
	v_cmp_gt_f16_e64 s[22:23], v9, v4
	s_and_b64 s[20:21], vcc, s[20:21]
	s_nop 0
	v_cndmask_b32_e64 v4, v4, v9, s[22:23]
	v_cndmask_b32_e64 v9, v4, v62, s[20:21]
; %bb.172:                              ;   in Loop: Header=BB4_116 Depth=3
	s_or_b64 exec, exec, s[52:53]
	v_mov_b32_e32 v4, v9
.LBB4_173:                              ;   in Loop: Header=BB4_116 Depth=3
	s_or_b64 exec, exec, s[50:51]
                                        ; implicit-def: $vgpr9
                                        ; implicit-def: $vgpr8
.LBB4_174:                              ;   in Loop: Header=BB4_116 Depth=3
	s_andn2_saveexec_b64 s[22:23], s[48:49]
	s_cbranch_execz .LBB4_115
; %bb.175:                              ;   in Loop: Header=BB4_116 Depth=3
	s_and_saveexec_b64 s[48:49], s[46:47]
	s_cbranch_execz .LBB4_114
; %bb.176:                              ;   in Loop: Header=BB4_116 Depth=3
	s_or_b64 s[18:19], vcc, s[18:19]
	s_and_saveexec_b64 s[46:47], s[18:19]
	s_cbranch_execz .LBB4_113
; %bb.177:                              ;   in Loop: Header=BB4_116 Depth=3
	v_cmp_lt_u16_e64 s[18:19], s56, v8
	v_cmp_gt_f16_e64 s[20:21], v9, v4
	s_and_b64 vcc, vcc, s[18:19]
	s_nop 0
	v_cndmask_b32_e64 v4, v9, v4, s[20:21]
	v_cndmask_b32_e32 v9, v4, v62, vcc
	s_branch .LBB4_113
.LBB4_178:                              ;   in Loop: Header=BB4_70 Depth=2
	s_or_b64 exec, exec, s[44:45]
	v_accvgpr_read_b32 v6, a6
	v_accvgpr_read_b32 v7, a7
	s_or_b64 exec, exec, s[42:43]
	s_and_saveexec_b64 s[18:19], s[6:7]
	s_cbranch_execz .LBB4_74
.LBB4_179:                              ;   in Loop: Header=BB4_70 Depth=2
	s_and_saveexec_b64 s[20:21], s[36:37]
	s_xor_b64 s[20:21], exec, s[20:21]
	s_cbranch_execz .LBB4_194
; %bb.180:                              ;   in Loop: Header=BB4_70 Depth=2
	s_and_saveexec_b64 s[22:23], s[8:9]
	s_cbranch_execz .LBB4_193
; %bb.181:                              ;   in Loop: Header=BB4_70 Depth=2
	s_mov_b64 s[44:45], exec
	v_mbcnt_lo_u32_b32 v0, s44, 0
	v_mbcnt_hi_u32_b32 v0, s45, v0
	v_cmp_eq_u32_e32 vcc, 0, v0
	s_waitcnt lgkmcnt(0)
	s_and_saveexec_b64 s[42:43], vcc
	s_cbranch_execz .LBB4_183
; %bb.182:                              ;   in Loop: Header=BB4_70 Depth=2
	s_bcnt1_i32_b64 vcc_lo, s[44:45]
	v_mov_b32_e32 v54, vcc_lo
	ds_add_u64 v0, v[54:55]
	s_trap 2
.LBB4_183:                              ;   in Loop: Header=BB4_70 Depth=2
	s_or_b64 exec, exec, s[42:43]
	s_trap 2
	ds_read_b64 v[0:1], v0
	s_waitcnt vmcnt(0)
	v_accvgpr_read_b32 v2, a20
	v_accvgpr_read_b32 v3, a21
	v_lshl_add_u64 v[52:53], v[52:53], 0, v[2:3]
	s_waitcnt lgkmcnt(0)
	v_cmp_lt_u64_e32 vcc, v[0:1], v[52:53]
	s_and_saveexec_b64 s[42:43], vcc
	s_cbranch_execz .LBB4_192
; %bb.184:                              ;   in Loop: Header=BB4_70 Depth=2
	s_mov_b32 s59, 0
	s_mov_b64 s[44:45], 0
                                        ; implicit-def: $sgpr46_sgpr47
                                        ; implicit-def: $sgpr48_sgpr49
	s_branch .LBB4_186
.LBB4_185:                              ;   in Loop: Header=BB4_186 Depth=3
	s_or_b64 exec, exec, s[52:53]
	s_and_b64 vcc, exec, vcc
	s_or_b64 s[44:45], vcc, s[44:45]
	s_andn2_b64 vcc, s[46:47], exec
	s_and_b64 s[46:47], s[48:49], exec
	s_or_b64 s[46:47], vcc, s[46:47]
	s_andn2_b64 exec, exec, s[44:45]
	s_cbranch_execz .LBB4_190
.LBB4_186:                              ;   Parent Loop BB4_21 Depth=1
                                        ;     Parent Loop BB4_70 Depth=2
                                        ; =>    This Inner Loop Header: Depth=3
	s_add_i32 s59, s59, 1
	s_cmpk_lg_i32 s59, 0x2710
	s_cselect_b64 s[50:51], -1, 0
	s_and_b64 vcc, exec, s[50:51]
                                        ; implicit-def: $sgpr52_sgpr53
	s_cbranch_vccnz .LBB4_188
; %bb.187:                              ;   in Loop: Header=BB4_186 Depth=3
	s_trap 2
	ds_read_b64 v[0:1], v0
	s_andn2_b64 s[50:51], s[50:51], exec
	s_mov_b32 s59, 0
	s_mov_b64 s[52:53], -1
	s_waitcnt lgkmcnt(0)
	flat_load_dword v0, v[0:1] sc0 sc1
	s_waitcnt vmcnt(0) lgkmcnt(0)
	buffer_inv sc0 sc1
	v_cmp_eq_u32_e32 vcc, 0, v0
	s_and_b64 vcc, vcc, exec
	s_or_b64 s[50:51], s[50:51], vcc
.LBB4_188:                              ;   in Loop: Header=BB4_186 Depth=3
	s_andn2_b64 s[48:49], s[48:49], exec
	s_and_b64 s[52:53], s[52:53], exec
	s_mov_b64 vcc, -1
	s_or_b64 s[48:49], s[48:49], s[52:53]
	s_and_saveexec_b64 s[52:53], s[50:51]
	s_cbranch_execz .LBB4_185
; %bb.189:                              ;   in Loop: Header=BB4_186 Depth=3
	s_sleep 1
	s_trap 2
	ds_read_b64 v[0:1], v0
	s_andn2_b64 s[48:49], s[48:49], exec
	s_waitcnt lgkmcnt(0)
	v_cmp_ge_u64_e32 vcc, v[0:1], v[52:53]
	s_orn2_b64 vcc, vcc, exec
	s_branch .LBB4_185
.LBB4_190:                              ;   in Loop: Header=BB4_70 Depth=2
	s_or_b64 exec, exec, s[44:45]
	s_and_saveexec_b64 vcc, s[46:47]
	s_xor_b64 vcc, exec, vcc
	s_cbranch_execz .LBB4_192
; %bb.191:                              ;   in Loop: Header=BB4_70 Depth=2
	v_mov_b32_e32 v0, 1
	ds_write_b32 v0, v0
	s_trap 2
.LBB4_192:                              ;   in Loop: Header=BB4_70 Depth=2
	s_or_b64 exec, exec, s[42:43]
	;;#ASMSTART
	s_wakeup
	;;#ASMEND
.LBB4_193:                              ;   in Loop: Header=BB4_70 Depth=2
	s_or_b64 exec, exec, s[22:23]
.LBB4_194:                              ;   in Loop: Header=BB4_70 Depth=2
	s_andn2_saveexec_b64 s[20:21], s[20:21]
	s_cbranch_execz .LBB4_196
; %bb.195:                              ;   in Loop: Header=BB4_70 Depth=2
	s_waitcnt lgkmcnt(0)
	s_barrier
.LBB4_196:                              ;   in Loop: Header=BB4_70 Depth=2
	s_or_b64 exec, exec, s[20:21]
	s_or_b64 exec, exec, s[18:19]
	s_and_saveexec_b64 s[18:19], s[12:13]
	s_cbranch_execnz .LBB4_75
	s_branch .LBB4_76
.LBB4_197:                              ;   in Loop: Header=BB4_21 Depth=1
	v_mov_b64_e32 v[42:43], v[30:31]
	s_and_saveexec_b64 s[22:23], s[16:17]
	s_cbranch_execnz .LBB4_199
	s_branch .LBB4_276
.LBB4_198:                              ;   in Loop: Header=BB4_21 Depth=1
	s_waitcnt vmcnt(0) lgkmcnt(0)
	v_accvgpr_read_b32 v2, a42
	v_mov_b64_e32 v[42:43], v[30:31]
	v_accvgpr_read_b32 v3, a43
	s_and_saveexec_b64 s[22:23], s[16:17]
	s_cbranch_execz .LBB4_276
.LBB4_199:                              ;   in Loop: Header=BB4_21 Depth=1
	flat_load_dword v4, v[18:19]
	v_lshlrev_b64 v[0:1], 1, v[2:3]
	v_accvgpr_read_b32 v2, a8
	v_accvgpr_read_b32 v6, a26
	v_and_b32_e32 v5, 7, v28
	v_accvgpr_read_b32 v3, a9
	v_accvgpr_read_b32 v7, a27
	v_lshl_add_u64 v[2:3], v[2:3], 0, v[0:1]
	v_lshl_add_u64 v[20:21], v[6:7], 0, v[0:1]
	v_mul_lo_u32 v0, v5, s54
	v_accvgpr_read_b32 v6, a14
	v_ashrrev_i32_e32 v1, 31, v0
	v_accvgpr_read_b32 v7, a15
	v_lshl_add_u64 v[30:31], v[0:1], 4, v[6:7]
	v_add_u32_e32 v8, 1, v28
	s_mov_b64 s[42:43], 0
	s_waitcnt vmcnt(0) lgkmcnt(0)
	v_ashrrev_i32_e32 v5, 31, v4
	v_mul_lo_u32 v6, v41, v4
	v_mad_u64_u32 v[0:1], s[16:17], v40, v4, 0
	v_mul_lo_u32 v4, v40, v5
	v_add3_u32 v1, v1, v4, v6
	v_lshl_add_u64 v[0:1], v[0:1], 1, v[2:3]
	v_accvgpr_read_b32 v2, a22
	v_accvgpr_read_b32 v3, a23
	v_lshl_add_u64 v[46:47], v[2:3], 1, v[0:1]
	v_mov_b32_e32 v0, v24
	s_branch .LBB4_201
.LBB4_200:                              ;   in Loop: Header=BB4_201 Depth=2
	v_sub_u32_e32 v17, v17, v56
	v_cmp_gt_i32_e32 vcc, 1, v17
	v_lshl_add_u64 v[46:47], v[46:47], 0, v[60:61]
	v_lshl_add_u64 v[20:21], v[20:21], 0, v[60:61]
	s_or_b64 s[42:43], vcc, s[42:43]
	v_add_u32_e32 v0, v0, v16
	s_andn2_b64 exec, exec, s[42:43]
	s_cbranch_execz .LBB4_275
.LBB4_201:                              ;   Parent Loop BB4_21 Depth=1
                                        ; =>  This Loop Header: Depth=2
                                        ;       Child Loop BB4_209 Depth 3
	v_and_b32_e32 v2, -4, v46
	v_mov_b32_e32 v3, v47
	global_load_dword v9, v[2:3], off nt
	v_min_u32_e32 v1, 4, v17
	v_and_b32_e32 v6, 3, v46
	v_mov_b32_e32 v7, 0
	v_lshlrev_b32_e32 v54, 1, v1
	v_lshl_add_u64 v[4:5], v[6:7], 0, v[54:55]
	v_cmp_lt_u64_e32 vcc, 4, v[4:5]
	v_mov_b32_e32 v6, 0
	s_and_saveexec_b64 s[16:17], vcc
	s_cbranch_execz .LBB4_203
; %bb.202:                              ;   in Loop: Header=BB4_201 Depth=2
	global_load_dword v6, v[2:3], off offset:4 nt
.LBB4_203:                              ;   in Loop: Header=BB4_201 Depth=2
	s_or_b64 exec, exec, s[16:17]
	v_cmp_lt_u64_e32 vcc, 8, v[4:5]
	s_and_saveexec_b64 s[16:17], vcc
	s_cbranch_execz .LBB4_205
; %bb.204:                              ;   in Loop: Header=BB4_201 Depth=2
	global_load_dword v7, v[2:3], off offset:8 nt
.LBB4_205:                              ;   in Loop: Header=BB4_201 Depth=2
	s_or_b64 exec, exec, s[16:17]
	v_ashrrev_i32_e32 v1, 31, v0
	v_lshl_add_u64 v[50:51], v[0:1], 4, v[30:31]
	global_load_dwordx4 v[2:5], v[50:51], off nt
	v_cmp_eq_u32_e32 vcc, 0, v22
	s_and_saveexec_b64 s[18:19], vcc
	s_cbranch_execz .LBB4_217
; %bb.206:                              ;   in Loop: Header=BB4_201 Depth=2
	s_waitcnt vmcnt(0)
	v_cmp_ne_u32_e32 vcc, v8, v3
	v_cmp_ne_u32_e64 s[16:17], v8, v5
	s_or_b64 s[16:17], vcc, s[16:17]
	v_mov_b32_e32 v22, 0
	s_and_saveexec_b64 s[20:21], s[16:17]
	s_cbranch_execz .LBB4_216
; %bb.207:                              ;   in Loop: Header=BB4_201 Depth=2
	s_mov_b32 s48, 1
	s_mov_b64 s[44:45], 0
	v_mov_b32_e32 v22, 0
	s_branch .LBB4_209
.LBB4_208:                              ;   in Loop: Header=BB4_209 Depth=3
	s_or_b64 exec, exec, s[46:47]
	s_and_b64 s[16:17], exec, s[16:17]
	s_or_b64 s[44:45], s[16:17], s[44:45]
	s_andn2_b64 exec, exec, s[44:45]
	s_cbranch_execz .LBB4_215
.LBB4_209:                              ;   Parent Loop BB4_21 Depth=1
                                        ;     Parent Loop BB4_201 Depth=2
                                        ; =>    This Inner Loop Header: Depth=3
	global_load_dwordx4 v[2:5], v[50:51], off nt
	s_add_i32 s48, s48, 1
	s_cmpk_lg_i32 s48, 0x2710
	s_cbranch_scc1 .LBB4_213
; %bb.210:                              ;   in Loop: Header=BB4_209 Depth=3
	s_trap 2
	ds_read_b64 v[26:27], v0
	s_waitcnt vmcnt(0) lgkmcnt(0)
	flat_load_dword v1, v[26:27] sc0 sc1
	s_waitcnt vmcnt(0) lgkmcnt(0)
	buffer_inv sc0 sc1
	v_cmp_ne_u32_e32 vcc, 0, v1
	s_and_saveexec_b64 s[16:17], vcc
	s_cbranch_execz .LBB4_212
; %bb.211:                              ;   in Loop: Header=BB4_209 Depth=3
	v_mov_b32_e32 v22, 1
	ds_write_b32 v0, v1
	s_trap 2
.LBB4_212:                              ;   in Loop: Header=BB4_209 Depth=3
	s_or_b64 exec, exec, s[16:17]
	s_mov_b32 s48, 0
	v_mov_b32_e32 v1, v22
	v_cmp_eq_u32_e32 vcc, 0, v1
	s_mov_b64 s[16:17], -1
	s_and_saveexec_b64 s[46:47], vcc
	s_cbranch_execz .LBB4_208
	s_branch .LBB4_214
.LBB4_213:                              ;   in Loop: Header=BB4_209 Depth=3
	v_mov_b32_e32 v1, 0
	v_cmp_eq_u32_e32 vcc, 0, v1
	s_mov_b64 s[16:17], -1
	s_and_saveexec_b64 s[46:47], vcc
	s_cbranch_execz .LBB4_208
.LBB4_214:                              ;   in Loop: Header=BB4_209 Depth=3
	s_waitcnt vmcnt(0)
	v_cmp_eq_u32_e32 vcc, v8, v3
	v_cmp_eq_u32_e64 s[16:17], v8, v5
	s_and_b64 s[16:17], vcc, s[16:17]
	s_orn2_b64 s[16:17], s[16:17], exec
	s_branch .LBB4_208
.LBB4_215:                              ;   in Loop: Header=BB4_201 Depth=2
	s_or_b64 exec, exec, s[44:45]
.LBB4_216:                              ;   in Loop: Header=BB4_201 Depth=2
	s_or_b64 exec, exec, s[20:21]
.LBB4_217:                              ;   in Loop: Header=BB4_201 Depth=2
	s_or_b64 exec, exec, s[18:19]
	s_waitcnt vmcnt(0)
	v_lshlrev_b32_e32 v3, 3, v46
	v_alignbit_b32 v5, v6, v9, v3
	v_and_b32_e32 v1, 0x7fff, v2
	v_and_b32_e32 v9, 0x7fff, v5
	v_cmp_lt_u16_e32 vcc, s56, v1
	v_cmp_gt_u16_e64 s[16:17], s57, v9
	s_and_b64 s[18:19], s[16:17], vcc
	s_xor_b64 s[44:45], s[18:19], -1
                                        ; implicit-def: $vgpr1
	s_and_saveexec_b64 s[18:19], s[10:11]
	s_xor_b64 s[46:47], exec, s[18:19]
	s_cbranch_execz .LBB4_223
; %bb.218:                              ;   in Loop: Header=BB4_201 Depth=2
	v_mov_b32_e32 v1, v5
	s_and_saveexec_b64 s[48:49], s[44:45]
	s_cbranch_execz .LBB4_222
; %bb.219:                              ;   in Loop: Header=BB4_201 Depth=2
	s_or_b64 s[18:19], s[16:17], vcc
	v_mov_b32_e32 v1, v2
	s_and_saveexec_b64 s[50:51], s[18:19]
; %bb.220:                              ;   in Loop: Header=BB4_201 Depth=2
	v_cmp_lt_u16_e64 s[18:19], s56, v9
	v_cmp_gt_f16_e64 s[20:21], v2, v5
	s_and_b64 s[18:19], s[18:19], vcc
	s_nop 0
	v_cndmask_b32_e64 v1, v5, v2, s[20:21]
	v_cndmask_b32_e64 v1, v1, v62, s[18:19]
; %bb.221:                              ;   in Loop: Header=BB4_201 Depth=2
	s_or_b64 exec, exec, s[50:51]
.LBB4_222:                              ;   in Loop: Header=BB4_201 Depth=2
	s_or_b64 exec, exec, s[48:49]
                                        ; implicit-def: $vgpr9
.LBB4_223:                              ;   in Loop: Header=BB4_201 Depth=2
	s_andn2_saveexec_b64 s[20:21], s[46:47]
	s_cbranch_execz .LBB4_229
; %bb.224:                              ;   in Loop: Header=BB4_201 Depth=2
	v_mov_b32_e32 v1, v5
	s_and_saveexec_b64 s[46:47], s[44:45]
	s_cbranch_execz .LBB4_228
; %bb.225:                              ;   in Loop: Header=BB4_201 Depth=2
	s_or_b64 s[16:17], s[16:17], vcc
	v_mov_b32_e32 v1, v2
	s_and_saveexec_b64 s[44:45], s[16:17]
; %bb.226:                              ;   in Loop: Header=BB4_201 Depth=2
	v_cmp_lt_u16_e64 s[16:17], s56, v9
	v_cmp_gt_f16_e64 s[18:19], v2, v5
	s_and_b64 vcc, s[16:17], vcc
	s_nop 0
	v_cndmask_b32_e64 v1, v2, v5, s[18:19]
	v_cndmask_b32_e32 v1, v1, v62, vcc
; %bb.227:                              ;   in Loop: Header=BB4_201 Depth=2
	s_or_b64 exec, exec, s[44:45]
.LBB4_228:                              ;   in Loop: Header=BB4_201 Depth=2
	s_or_b64 exec, exec, s[46:47]
.LBB4_229:                              ;   in Loop: Header=BB4_201 Depth=2
	s_or_b64 exec, exec, s[20:21]
	v_lshrrev_b32_e32 v9, 16, v2
	v_lshrrev_b32_e32 v2, 16, v5
	v_and_b32_e32 v5, 0x7fff, v9
	v_cmp_lt_u16_e32 vcc, s56, v5
	v_and_b32_e32 v5, 0x7fff, v2
	v_cmp_gt_u16_e64 s[16:17], s57, v5
	s_and_b64 s[18:19], s[16:17], vcc
	s_xor_b64 s[44:45], s[18:19], -1
	s_and_saveexec_b64 s[18:19], s[10:11]
	s_xor_b64 s[46:47], exec, s[18:19]
	s_cbranch_execz .LBB4_235
; %bb.230:                              ;   in Loop: Header=BB4_201 Depth=2
	s_and_saveexec_b64 s[48:49], s[44:45]
	s_cbranch_execz .LBB4_234
; %bb.231:                              ;   in Loop: Header=BB4_201 Depth=2
	s_or_b64 s[18:19], s[16:17], vcc
	s_and_saveexec_b64 s[50:51], s[18:19]
; %bb.232:                              ;   in Loop: Header=BB4_201 Depth=2
	v_cmp_lt_u16_e64 s[18:19], s56, v5
	v_cmp_gt_f16_e64 s[20:21], v9, v2
	s_and_b64 s[18:19], s[18:19], vcc
	s_nop 0
	v_cndmask_b32_e64 v2, v2, v9, s[20:21]
	v_cndmask_b32_e64 v9, v2, v62, s[18:19]
; %bb.233:                              ;   in Loop: Header=BB4_201 Depth=2
	s_or_b64 exec, exec, s[50:51]
	v_mov_b32_e32 v2, v9
.LBB4_234:                              ;   in Loop: Header=BB4_201 Depth=2
	s_or_b64 exec, exec, s[48:49]
                                        ; implicit-def: $vgpr9
                                        ; implicit-def: $vgpr5
.LBB4_235:                              ;   in Loop: Header=BB4_201 Depth=2
	s_andn2_saveexec_b64 s[20:21], s[46:47]
	s_cbranch_execz .LBB4_241
; %bb.236:                              ;   in Loop: Header=BB4_201 Depth=2
	s_and_saveexec_b64 s[46:47], s[44:45]
	s_cbranch_execz .LBB4_240
; %bb.237:                              ;   in Loop: Header=BB4_201 Depth=2
	s_or_b64 s[16:17], s[16:17], vcc
	s_and_saveexec_b64 s[44:45], s[16:17]
; %bb.238:                              ;   in Loop: Header=BB4_201 Depth=2
	v_cmp_lt_u16_e64 s[16:17], s56, v5
	v_cmp_gt_f16_e64 s[18:19], v9, v2
	s_and_b64 vcc, s[16:17], vcc
	s_nop 0
	v_cndmask_b32_e64 v2, v9, v2, s[18:19]
	v_cndmask_b32_e32 v9, v2, v62, vcc
; %bb.239:                              ;   in Loop: Header=BB4_201 Depth=2
	s_or_b64 exec, exec, s[44:45]
	v_mov_b32_e32 v2, v9
.LBB4_240:                              ;   in Loop: Header=BB4_201 Depth=2
	s_or_b64 exec, exec, s[46:47]
.LBB4_241:                              ;   in Loop: Header=BB4_201 Depth=2
	s_or_b64 exec, exec, s[20:21]
	v_alignbit_b32 v5, v7, v6, v3
	v_and_b32_e32 v3, 0x7fff, v4
	v_and_b32_e32 v6, 0x7fff, v5
	v_cmp_lt_u16_e32 vcc, s56, v3
	v_cmp_gt_u16_e64 s[16:17], s57, v6
	s_and_b64 s[18:19], s[16:17], vcc
	s_xor_b64 s[44:45], s[18:19], -1
                                        ; implicit-def: $vgpr3
	s_and_saveexec_b64 s[18:19], s[10:11]
	s_xor_b64 s[46:47], exec, s[18:19]
	s_cbranch_execz .LBB4_247
; %bb.242:                              ;   in Loop: Header=BB4_201 Depth=2
	v_mov_b32_e32 v3, v5
	s_and_saveexec_b64 s[48:49], s[44:45]
	s_cbranch_execz .LBB4_246
; %bb.243:                              ;   in Loop: Header=BB4_201 Depth=2
	s_or_b64 s[18:19], s[16:17], vcc
	v_mov_b32_e32 v3, v4
	s_and_saveexec_b64 s[50:51], s[18:19]
; %bb.244:                              ;   in Loop: Header=BB4_201 Depth=2
	v_cmp_lt_u16_e64 s[18:19], s56, v6
	v_cmp_gt_f16_e64 s[20:21], v4, v5
	s_and_b64 s[18:19], s[18:19], vcc
	s_nop 0
	v_cndmask_b32_e64 v3, v5, v4, s[20:21]
	v_cndmask_b32_e64 v3, v3, v62, s[18:19]
; %bb.245:                              ;   in Loop: Header=BB4_201 Depth=2
	s_or_b64 exec, exec, s[50:51]
.LBB4_246:                              ;   in Loop: Header=BB4_201 Depth=2
	s_or_b64 exec, exec, s[48:49]
                                        ; implicit-def: $vgpr6
.LBB4_247:                              ;   in Loop: Header=BB4_201 Depth=2
	s_andn2_saveexec_b64 s[20:21], s[46:47]
	s_cbranch_execz .LBB4_253
; %bb.248:                              ;   in Loop: Header=BB4_201 Depth=2
	v_mov_b32_e32 v3, v5
	s_and_saveexec_b64 s[46:47], s[44:45]
	s_cbranch_execz .LBB4_252
; %bb.249:                              ;   in Loop: Header=BB4_201 Depth=2
	s_or_b64 s[16:17], s[16:17], vcc
	v_mov_b32_e32 v3, v4
	s_and_saveexec_b64 s[44:45], s[16:17]
; %bb.250:                              ;   in Loop: Header=BB4_201 Depth=2
	v_cmp_lt_u16_e64 s[16:17], s56, v6
	v_cmp_gt_f16_e64 s[18:19], v4, v5
	s_and_b64 vcc, s[16:17], vcc
	s_nop 0
	v_cndmask_b32_e64 v3, v4, v5, s[18:19]
	v_cndmask_b32_e32 v3, v3, v62, vcc
; %bb.251:                              ;   in Loop: Header=BB4_201 Depth=2
	s_or_b64 exec, exec, s[44:45]
.LBB4_252:                              ;   in Loop: Header=BB4_201 Depth=2
	s_or_b64 exec, exec, s[46:47]
.LBB4_253:                              ;   in Loop: Header=BB4_201 Depth=2
	s_or_b64 exec, exec, s[20:21]
	v_lshrrev_b32_e32 v6, 16, v4
	v_lshrrev_b32_e32 v4, 16, v5
	v_and_b32_e32 v5, 0x7fff, v6
	v_cmp_lt_u16_e32 vcc, s56, v5
	v_and_b32_e32 v5, 0x7fff, v4
	v_cmp_gt_u16_e64 s[16:17], s57, v5
	s_and_b64 s[18:19], vcc, s[16:17]
	s_xor_b64 s[44:45], s[18:19], -1
	s_and_saveexec_b64 s[18:19], s[10:11]
	s_xor_b64 s[46:47], exec, s[18:19]
	s_cbranch_execz .LBB4_259
; %bb.254:                              ;   in Loop: Header=BB4_201 Depth=2
	s_and_saveexec_b64 s[48:49], s[44:45]
	s_cbranch_execz .LBB4_258
; %bb.255:                              ;   in Loop: Header=BB4_201 Depth=2
	s_or_b64 s[18:19], vcc, s[16:17]
	s_and_saveexec_b64 s[50:51], s[18:19]
; %bb.256:                              ;   in Loop: Header=BB4_201 Depth=2
	v_cmp_lt_u16_e64 s[18:19], s56, v5
	v_cmp_gt_f16_e64 s[20:21], v6, v4
	s_and_b64 s[18:19], vcc, s[18:19]
	s_nop 0
	v_cndmask_b32_e64 v4, v4, v6, s[20:21]
	v_cndmask_b32_e64 v6, v4, v62, s[18:19]
; %bb.257:                              ;   in Loop: Header=BB4_201 Depth=2
	s_or_b64 exec, exec, s[50:51]
	v_mov_b32_e32 v4, v6
.LBB4_258:                              ;   in Loop: Header=BB4_201 Depth=2
	s_or_b64 exec, exec, s[48:49]
                                        ; implicit-def: $vgpr6
                                        ; implicit-def: $vgpr5
.LBB4_259:                              ;   in Loop: Header=BB4_201 Depth=2
	s_andn2_saveexec_b64 s[20:21], s[46:47]
	s_cbranch_execz .LBB4_265
; %bb.260:                              ;   in Loop: Header=BB4_201 Depth=2
	s_and_saveexec_b64 s[46:47], s[44:45]
	s_cbranch_execz .LBB4_264
; %bb.261:                              ;   in Loop: Header=BB4_201 Depth=2
	s_or_b64 s[16:17], vcc, s[16:17]
	s_and_saveexec_b64 s[44:45], s[16:17]
; %bb.262:                              ;   in Loop: Header=BB4_201 Depth=2
	v_cmp_lt_u16_e64 s[16:17], s56, v5
	v_cmp_gt_f16_e64 s[18:19], v6, v4
	s_and_b64 vcc, vcc, s[16:17]
	s_nop 0
	v_cndmask_b32_e64 v4, v6, v4, s[18:19]
	v_cndmask_b32_e32 v6, v4, v62, vcc
; %bb.263:                              ;   in Loop: Header=BB4_201 Depth=2
	s_or_b64 exec, exec, s[44:45]
	v_mov_b32_e32 v4, v6
.LBB4_264:                              ;   in Loop: Header=BB4_201 Depth=2
	s_or_b64 exec, exec, s[46:47]
.LBB4_265:                              ;   in Loop: Header=BB4_201 Depth=2
	s_or_b64 exec, exec, s[20:21]
	v_cmp_lt_u32_e32 vcc, 3, v17
	s_and_b64 s[16:17], s[14:15], vcc
	v_cndmask_b32_e64 v5, 0, 1, s[16:17]
	;;#ASMSTART
	;;#ASMEND
	s_nop 0
	v_cmp_ne_u32_e64 s[16:17], 0, v5
	s_cmp_lg_u64 s[16:17], exec
	s_mov_b64 s[16:17], -1
	s_cbranch_scc0 .LBB4_271
; %bb.266:                              ;   in Loop: Header=BB4_201 Depth=2
	v_cmp_ne_u32_e64 s[16:17], 1, v17
	flat_store_short v[20:21], v1
	s_and_saveexec_b64 s[18:19], s[16:17]
	s_cbranch_execnz .LBB4_273
; %bb.267:                              ;   in Loop: Header=BB4_201 Depth=2
	s_or_b64 exec, exec, s[18:19]
	v_cmp_lt_u32_e64 s[16:17], 2, v17
	s_and_saveexec_b64 s[18:19], s[16:17]
	s_cbranch_execnz .LBB4_274
.LBB4_268:                              ;   in Loop: Header=BB4_201 Depth=2
	s_or_b64 exec, exec, s[18:19]
	s_and_saveexec_b64 s[16:17], vcc
	s_cbranch_execz .LBB4_270
.LBB4_269:                              ;   in Loop: Header=BB4_201 Depth=2
	flat_store_short v[20:21], v4 offset:6
.LBB4_270:                              ;   in Loop: Header=BB4_201 Depth=2
	s_or_b64 exec, exec, s[16:17]
	s_mov_b64 s[16:17], 0
.LBB4_271:                              ;   in Loop: Header=BB4_201 Depth=2
	s_and_b64 vcc, exec, s[16:17]
	s_cbranch_vccz .LBB4_200
; %bb.272:                              ;   in Loop: Header=BB4_201 Depth=2
	v_lshlrev_b32_e32 v2, 16, v2
	v_and_b32_e32 v1, 0xffff, v1
	v_or_b32_e32 v1, v2, v1
	v_lshlrev_b32_e32 v2, 16, v4
	v_and_b32_e32 v3, 0xffff, v3
	v_or3_b32 v3, v2, v3, 0
	v_or3_b32 v2, 0, 0, v1
	global_store_dwordx2 v[20:21], v[2:3], off
	s_branch .LBB4_200
.LBB4_273:                              ;   in Loop: Header=BB4_201 Depth=2
	flat_store_short v[20:21], v2 offset:2
	s_or_b64 exec, exec, s[18:19]
	v_cmp_lt_u32_e64 s[16:17], 2, v17
	s_and_saveexec_b64 s[18:19], s[16:17]
	s_cbranch_execz .LBB4_268
.LBB4_274:                              ;   in Loop: Header=BB4_201 Depth=2
	flat_store_short v[20:21], v3 offset:4
	s_or_b64 exec, exec, s[18:19]
	s_and_saveexec_b64 s[16:17], vcc
	s_cbranch_execnz .LBB4_269
	s_branch .LBB4_270
.LBB4_275:                              ;   in Loop: Header=BB4_21 Depth=1
	s_or_b64 exec, exec, s[42:43]
	v_accvgpr_read_b32 v6, a6
	v_accvgpr_read_b32 v7, a7
.LBB4_276:                              ;   in Loop: Header=BB4_21 Depth=1
	s_or_b64 exec, exec, s[22:23]
	s_and_saveexec_b64 s[16:17], s[6:7]
	s_cbranch_execnz .LBB4_278
; %bb.277:                              ;   in Loop: Header=BB4_21 Depth=1
	s_or_b64 exec, exec, s[16:17]
	s_and_saveexec_b64 s[16:17], s[12:13]
	s_cbranch_execz .LBB4_20
	s_branch .LBB4_296
.LBB4_278:                              ;   in Loop: Header=BB4_21 Depth=1
	s_and_saveexec_b64 s[18:19], s[36:37]
	s_xor_b64 s[18:19], exec, s[18:19]
	s_cbranch_execz .LBB4_293
; %bb.279:                              ;   in Loop: Header=BB4_21 Depth=1
	s_and_saveexec_b64 s[20:21], s[8:9]
	s_cbranch_execz .LBB4_292
; %bb.280:                              ;   in Loop: Header=BB4_21 Depth=1
	s_mov_b64 s[42:43], exec
	v_mbcnt_lo_u32_b32 v0, s42, 0
	v_mbcnt_hi_u32_b32 v0, s43, v0
	v_cmp_eq_u32_e32 vcc, 0, v0
	s_waitcnt lgkmcnt(0)
	s_and_saveexec_b64 s[22:23], vcc
	s_cbranch_execz .LBB4_282
; %bb.281:                              ;   in Loop: Header=BB4_21 Depth=1
	s_bcnt1_i32_b64 vcc_lo, s[42:43]
	v_mov_b32_e32 v54, vcc_lo
	ds_add_u64 v0, v[54:55]
	s_trap 2
.LBB4_282:                              ;   in Loop: Header=BB4_21 Depth=1
	s_or_b64 exec, exec, s[22:23]
	s_trap 2
	ds_read_b64 v[0:1], v0
	v_accvgpr_read_b32 v2, a20
	v_accvgpr_read_b32 v3, a21
	v_lshl_add_u64 v[52:53], v[52:53], 0, v[2:3]
	s_waitcnt lgkmcnt(0)
	v_cmp_lt_u64_e32 vcc, v[0:1], v[52:53]
	s_and_saveexec_b64 s[22:23], vcc
	s_cbranch_execz .LBB4_291
; %bb.283:                              ;   in Loop: Header=BB4_21 Depth=1
	s_mov_b32 s52, 0
	s_mov_b64 s[42:43], 0
                                        ; implicit-def: $sgpr44_sgpr45
                                        ; implicit-def: $sgpr46_sgpr47
	s_branch .LBB4_285
.LBB4_284:                              ;   in Loop: Header=BB4_285 Depth=2
	s_or_b64 exec, exec, s[50:51]
	s_and_b64 vcc, exec, vcc
	s_or_b64 s[42:43], vcc, s[42:43]
	s_andn2_b64 vcc, s[44:45], exec
	s_and_b64 s[44:45], s[46:47], exec
	s_or_b64 s[44:45], vcc, s[44:45]
	s_andn2_b64 exec, exec, s[42:43]
	s_cbranch_execz .LBB4_289
.LBB4_285:                              ;   Parent Loop BB4_21 Depth=1
                                        ; =>  This Inner Loop Header: Depth=2
	s_add_i32 s52, s52, 1
	s_cmpk_lg_i32 s52, 0x2710
	s_cselect_b64 s[48:49], -1, 0
	s_and_b64 vcc, exec, s[48:49]
                                        ; implicit-def: $sgpr50_sgpr51
	s_cbranch_vccnz .LBB4_287
; %bb.286:                              ;   in Loop: Header=BB4_285 Depth=2
	s_trap 2
	ds_read_b64 v[0:1], v0
	s_andn2_b64 s[48:49], s[48:49], exec
	s_mov_b32 s52, 0
	s_mov_b64 s[50:51], -1
	s_waitcnt vmcnt(0) lgkmcnt(0)
	flat_load_dword v0, v[0:1] sc0 sc1
	s_waitcnt vmcnt(0) lgkmcnt(0)
	buffer_inv sc0 sc1
	v_cmp_eq_u32_e32 vcc, 0, v0
	s_and_b64 vcc, vcc, exec
	s_or_b64 s[48:49], s[48:49], vcc
.LBB4_287:                              ;   in Loop: Header=BB4_285 Depth=2
	s_andn2_b64 s[46:47], s[46:47], exec
	s_and_b64 s[50:51], s[50:51], exec
	s_mov_b64 vcc, -1
	s_or_b64 s[46:47], s[46:47], s[50:51]
	s_and_saveexec_b64 s[50:51], s[48:49]
	s_cbranch_execz .LBB4_284
; %bb.288:                              ;   in Loop: Header=BB4_285 Depth=2
	s_sleep 1
	s_trap 2
	ds_read_b64 v[0:1], v0
	s_andn2_b64 s[46:47], s[46:47], exec
	s_waitcnt lgkmcnt(0)
	v_cmp_ge_u64_e32 vcc, v[0:1], v[52:53]
	s_orn2_b64 vcc, vcc, exec
	s_branch .LBB4_284
.LBB4_289:                              ;   in Loop: Header=BB4_21 Depth=1
	s_or_b64 exec, exec, s[42:43]
	s_and_saveexec_b64 vcc, s[44:45]
	s_xor_b64 vcc, exec, vcc
	s_cbranch_execz .LBB4_291
; %bb.290:                              ;   in Loop: Header=BB4_21 Depth=1
	v_mov_b32_e32 v0, 1
	ds_write_b32 v0, v0
	s_trap 2
.LBB4_291:                              ;   in Loop: Header=BB4_21 Depth=1
	s_or_b64 exec, exec, s[22:23]
	;;#ASMSTART
	s_wakeup
	;;#ASMEND
.LBB4_292:                              ;   in Loop: Header=BB4_21 Depth=1
	s_or_b64 exec, exec, s[20:21]
.LBB4_293:                              ;   in Loop: Header=BB4_21 Depth=1
	s_andn2_saveexec_b64 s[18:19], s[18:19]
	s_cbranch_execz .LBB4_295
; %bb.294:                              ;   in Loop: Header=BB4_21 Depth=1
	s_waitcnt lgkmcnt(0)
	s_barrier
.LBB4_295:                              ;   in Loop: Header=BB4_21 Depth=1
	s_or_b64 exec, exec, s[18:19]
	s_or_b64 exec, exec, s[16:17]
	s_and_saveexec_b64 s[16:17], s[12:13]
	s_cbranch_execz .LBB4_20
.LBB4_296:                              ;   in Loop: Header=BB4_21 Depth=1
	v_accvgpr_read_b32 v0, a16
	v_lshl_add_u64 v[34:35], v[34:35], 0, 1
	v_accvgpr_read_b32 v1, a17
	flat_store_dwordx2 v[0:1], v[34:35] sc0 sc1
	s_branch .LBB4_20
.LBB4_297:
	s_or_b64 exec, exec, s[34:35]
	v_accvgpr_read_b32 v27, a11
	v_accvgpr_read_b32 v39, a13
	;; [unrolled: 1-line block ×6, first 2 shown]
.LBB4_298:
	s_or_b64 exec, exec, s[28:29]
; %bb.299:
	s_and_saveexec_b64 s[2:3], s[26:27]
	s_cbranch_execnz .LBB4_302
; %bb.300:
	s_or_b64 exec, exec, s[2:3]
	s_and_saveexec_b64 s[2:3], s[0:1]
	s_cbranch_execnz .LBB4_303
.LBB4_301:
	s_or_b64 exec, exec, s[2:3]
	v_cmp_ne_u32_e32 vcc, 64, v16
	s_and_saveexec_b64 s[0:1], vcc
	s_cbranch_execnz .LBB4_304
	s_branch .LBB4_321
.LBB4_302:
	s_waitcnt vmcnt(0) lgkmcnt(0)
	flat_store_dwordx2 v[38:39], v[34:35] offset:104
	s_or_b64 exec, exec, s[2:3]
	s_and_saveexec_b64 s[2:3], s[0:1]
	s_cbranch_execz .LBB4_301
.LBB4_303:
	s_waitcnt vmcnt(0) lgkmcnt(0)
	flat_store_dwordx2 v[26:27], v[14:15] offset:104
	s_or_b64 exec, exec, s[2:3]
	v_cmp_ne_u32_e32 vcc, 64, v16
	s_and_saveexec_b64 s[0:1], vcc
	s_cbranch_execz .LBB4_321
.LBB4_304:
	v_cmp_ne_u32_sdwa s[2:3], v17, v16 src0_sel:WORD_0 src1_sel:DWORD
	s_and_saveexec_b64 s[4:5], s[2:3]
	s_xor_b64 s[2:3], exec, s[4:5]
	s_cbranch_execz .LBB4_319
; %bb.305:
	v_and_b32_e32 v0, 63, v31
	v_cmp_eq_u32_e32 vcc, 0, v0
	s_and_saveexec_b64 s[4:5], vcc
	s_cbranch_execz .LBB4_318
; %bb.306:
	s_mov_b64 s[8:9], exec
	v_mbcnt_lo_u32_b32 v0, s8, 0
	v_mbcnt_hi_u32_b32 v0, s9, v0
	v_cmp_eq_u32_e32 vcc, 0, v0
	s_waitcnt lgkmcnt(0)
	s_and_saveexec_b64 s[6:7], vcc
	s_cbranch_execz .LBB4_308
; %bb.307:
	s_bcnt1_i32_b64 s8, s[8:9]
	v_mov_b32_e32 v0, s8
	v_mov_b32_e32 v1, 0
	ds_add_u64 v0, v[0:1]
	s_trap 2
.LBB4_308:
	s_or_b64 exec, exec, s[6:7]
	v_ashrrev_i32_e32 v0, 31, v16
	v_lshrrev_b32_e32 v0, 26, v0
	s_trap 2
	ds_read_b64 v[2:3], v0
	v_add_u32_e32 v0, v16, v0
	v_ashrrev_i32_e32 v0, 6, v0
	v_ashrrev_i32_e32 v1, 31, v0
	v_lshl_add_u64 v[0:1], v[52:53], 0, v[0:1]
	s_waitcnt lgkmcnt(0)
	v_cmp_lt_u64_e32 vcc, v[2:3], v[0:1]
	s_and_saveexec_b64 s[6:7], vcc
	s_cbranch_execz .LBB4_317
; %bb.309:
	s_mov_b32 s20, 0
	s_mov_b64 s[8:9], 0
                                        ; implicit-def: $sgpr10_sgpr11
                                        ; implicit-def: $sgpr12_sgpr13
	s_branch .LBB4_311
.LBB4_310:                              ;   in Loop: Header=BB4_311 Depth=1
	s_or_b64 exec, exec, s[18:19]
	s_and_b64 s[14:15], exec, s[16:17]
	s_or_b64 s[8:9], s[14:15], s[8:9]
	s_andn2_b64 s[10:11], s[10:11], exec
	s_and_b64 s[14:15], s[12:13], exec
	s_or_b64 s[10:11], s[10:11], s[14:15]
	s_andn2_b64 exec, exec, s[8:9]
	s_cbranch_execz .LBB4_315
.LBB4_311:                              ; =>This Inner Loop Header: Depth=1
	s_add_i32 s20, s20, 1
	s_cmpk_lg_i32 s20, 0x2710
	s_cselect_b64 s[14:15], -1, 0
	s_and_b64 vcc, exec, s[14:15]
                                        ; implicit-def: $sgpr18_sgpr19
	s_cbranch_vccnz .LBB4_313
; %bb.312:                              ;   in Loop: Header=BB4_311 Depth=1
	s_trap 2
	ds_read_b64 v[2:3], v0
	s_andn2_b64 s[14:15], s[14:15], exec
	s_mov_b32 s20, 0
	s_mov_b64 s[18:19], -1
	s_waitcnt vmcnt(0) lgkmcnt(0)
	flat_load_dword v2, v[2:3] sc0 sc1
	s_waitcnt vmcnt(0) lgkmcnt(0)
	buffer_inv sc0 sc1
	v_cmp_eq_u32_e32 vcc, 0, v2
	s_and_b64 s[16:17], vcc, exec
	s_or_b64 s[14:15], s[14:15], s[16:17]
.LBB4_313:                              ;   in Loop: Header=BB4_311 Depth=1
	s_andn2_b64 s[12:13], s[12:13], exec
	s_and_b64 s[18:19], s[18:19], exec
	s_mov_b64 s[16:17], -1
	s_or_b64 s[12:13], s[12:13], s[18:19]
	s_and_saveexec_b64 s[18:19], s[14:15]
	s_cbranch_execz .LBB4_310
; %bb.314:                              ;   in Loop: Header=BB4_311 Depth=1
	s_sleep 1
	s_trap 2
	ds_read_b64 v[2:3], v0
	s_andn2_b64 s[12:13], s[12:13], exec
	s_waitcnt lgkmcnt(0)
	v_cmp_ge_u64_e32 vcc, v[2:3], v[0:1]
	s_orn2_b64 s[16:17], vcc, exec
	s_branch .LBB4_310
.LBB4_315:
	s_or_b64 exec, exec, s[8:9]
	s_and_saveexec_b64 s[8:9], s[10:11]
	s_xor_b64 s[8:9], exec, s[8:9]
	s_cbranch_execz .LBB4_317
; %bb.316:
	v_mov_b32_e32 v0, 1
	ds_write_b32 v0, v0
	s_trap 2
.LBB4_317:
	s_or_b64 exec, exec, s[6:7]
	;;#ASMSTART
	s_wakeup
	;;#ASMEND
.LBB4_318:
	s_or_b64 exec, exec, s[4:5]
.LBB4_319:
	s_andn2_saveexec_b64 s[2:3], s[2:3]
	s_cbranch_execz .LBB4_321
; %bb.320:
	s_waitcnt lgkmcnt(0)
	s_barrier
.LBB4_321:
	s_or_b64 exec, exec, s[0:1]
	scratch_load_dword a43, off, s32        ; 4-byte Folded Reload
	scratch_load_dword a42, off, s32 offset:4 ; 4-byte Folded Reload
	scratch_load_dword a40, off, s32 offset:8 ; 4-byte Folded Reload
	scratch_load_dword a39, off, s32 offset:12 ; 4-byte Folded Reload
	scratch_load_dword a38, off, s32 offset:16 ; 4-byte Folded Reload
	scratch_load_dword a37, off, s32 offset:20 ; 4-byte Folded Reload
	scratch_load_dword a36, off, s32 offset:24 ; 4-byte Folded Reload
	scratch_load_dword a35, off, s32 offset:28 ; 4-byte Folded Reload
	scratch_load_dword a34, off, s32 offset:32 ; 4-byte Folded Reload
	scratch_load_dword a33, off, s32 offset:36 ; 4-byte Folded Reload
	scratch_load_dword a32, off, s32 offset:40 ; 4-byte Folded Reload
	scratch_load_dword v62, off, s32 offset:44 ; 4-byte Folded Reload
	scratch_load_dword v61, off, s32 offset:48 ; 4-byte Folded Reload
	scratch_load_dword v60, off, s32 offset:52 ; 4-byte Folded Reload
	scratch_load_dword v59, off, s32 offset:56 ; 4-byte Folded Reload
	scratch_load_dword v58, off, s32 offset:60 ; 4-byte Folded Reload
	scratch_load_dword v57, off, s32 offset:64 ; 4-byte Folded Reload
	scratch_load_dword v56, off, s32 offset:68 ; 4-byte Folded Reload
	scratch_load_dword v47, off, s32 offset:72 ; 4-byte Folded Reload
	scratch_load_dword v46, off, s32 offset:76 ; 4-byte Folded Reload
	scratch_load_dword v45, off, s32 offset:80 ; 4-byte Folded Reload
	scratch_load_dword v44, off, s32 offset:84 ; 4-byte Folded Reload
	s_waitcnt lgkmcnt(0)
	scratch_load_dword v43, off, s32 offset:88 ; 4-byte Folded Reload
	scratch_load_dword v42, off, s32 offset:92 ; 4-byte Folded Reload
	;; [unrolled: 1-line block ×4, first 2 shown]
	v_readlane_b32 s30, v63, 26
	v_readlane_b32 s31, v63, 27
	;; [unrolled: 1-line block ×28, first 2 shown]
	s_or_saveexec_b64 s[0:1], -1
	scratch_load_dword v63, off, s32 offset:104 ; 4-byte Folded Reload
	s_mov_b64 exec, s[0:1]
	s_waitcnt vmcnt(0)
	s_setpc_b64 s[30:31]
.Lfunc_end4:
	.size	_ZN12_GLOBAL__N_17runRingI6__half10FuncMinMaxIS1_E7ProtoLLLi0ELi4ELi0EEEviiP15ncclDevWorkColl, .Lfunc_end4-_ZN12_GLOBAL__N_17runRingI6__half10FuncMinMaxIS1_E7ProtoLLLi0ELi4ELi0EEEviiP15ncclDevWorkColl
                                        ; -- End function
	.section	.AMDGPU.csdata,"",@progbits
; Function info:
; codeLenInByte = 9836
; NumSgprs: 66
; NumVgprs: 64
; NumAgprs: 44
; TotalNumVgprs: 108
; ScratchSize: 112
; MemoryBound: 0
	.text
	.p2align	2                               ; -- Begin function _Z50ncclDevFunc_ReduceScatter_RING_LL_MinMax_f16_0_0_4v
	.type	_Z50ncclDevFunc_ReduceScatter_RING_LL_MinMax_f16_0_0_4v,@function
_Z50ncclDevFunc_ReduceScatter_RING_LL_MinMax_f16_0_0_4v: ; @_Z50ncclDevFunc_ReduceScatter_RING_LL_MinMax_f16_0_0_4v
; %bb.0:
	s_waitcnt vmcnt(0) expcnt(0) lgkmcnt(0)
	s_mov_b32 s0, s33
	s_mov_b32 s33, s32
	s_or_saveexec_b64 s[2:3], -1
	scratch_store_dword off, v43, s33 offset:16 ; 4-byte Folded Spill
	s_mov_b64 exec, s[2:3]
	v_writelane_b32 v43, s0, 36
	s_add_i32 s32, s32, 32
	scratch_store_dword off, v40, s33 offset:12 ; 4-byte Folded Spill
	scratch_store_dword off, v41, s33 offset:8 ; 4-byte Folded Spill
	;; [unrolled: 1-line block ×3, first 2 shown]
	scratch_store_dword off, v63, s33       ; 4-byte Folded Spill
	v_writelane_b32 v43, s34, 0
	v_writelane_b32 v43, s35, 1
	;; [unrolled: 1-line block ×35, first 2 shown]
	s_nop 1
	v_writelane_b32 v43, s31, 35
	s_trap 2
	ds_read_b32 v0, v0
	v_mov_b32_e32 v40, v31
	v_and_b32_e32 v41, 0x3ff, v40
	s_mov_b32 s62, s12
	s_mov_b64 s[60:61], s[8:9]
	s_waitcnt lgkmcnt(0)
	v_cmp_lt_i32_e32 vcc, v41, v0
	s_and_saveexec_b64 s[0:1], vcc
	s_cbranch_execz .LBB5_5
; %bb.1:
	s_load_dword s2, s[60:61], 0x0
	v_mov_b32_e32 v1, 0
	s_mov_b32 s6, 0
	v_mov_b32_e32 v4, v41
                                        ; implicit-def: $vgpr2
	s_waitcnt lgkmcnt(0)
	s_cmp_lt_u32 s62, s2
	s_cselect_b32 s2, 12, 18
	s_add_u32 s2, s60, s2
	s_addc_u32 s3, s61, 0
	global_load_ushort v1, v1, s[2:3]
	s_trap 2
	ds_read_b32 v3, v0
	s_mov_b64 s[2:3], 0
	s_waitcnt vmcnt(0) lgkmcnt(0)
	v_mul_lo_u32 v3, v3, v1
	s_branch .LBB5_3
.LBB5_2:                                ;   in Loop: Header=BB5_3 Depth=1
	s_or_b64 exec, exec, s[4:5]
	v_add_u32_e32 v4, v4, v1
	v_cmp_ge_i32_e32 vcc, v4, v0
	s_or_b64 s[2:3], vcc, s[2:3]
	v_add_u32_e32 v2, v2, v3
	s_andn2_b64 exec, exec, s[2:3]
	s_cbranch_execz .LBB5_5
.LBB5_3:                                ; =>This Inner Loop Header: Depth=1
	ds_read_b32 v5, v2
	s_waitcnt lgkmcnt(0)
	v_and_b32_e32 v5, 0x1000000, v5
	v_cmp_ne_u32_e32 vcc, 0, v5
	s_and_saveexec_b64 s[4:5], vcc
	s_cbranch_execz .LBB5_2
; %bb.4:                                ;   in Loop: Header=BB5_3 Depth=1
	ds_read_b64 v[6:7], v2 offset:104
	s_waitcnt lgkmcnt(0)
	flat_load_ushort v5, v[6:7]
	v_mov_b32_e32 v7, s6
	s_waitcnt vmcnt(0) lgkmcnt(0)
	v_and_b32_e32 v6, 0xffff, v5
	ds_write_b64 v2, v[6:7] offset:104
	s_branch .LBB5_2
.LBB5_5:
	s_or_b64 exec, exec, s[0:1]
	s_waitcnt lgkmcnt(0)
	s_barrier
	s_trap 2
	ds_read_b32 v0, v0
	s_waitcnt lgkmcnt(0)
	v_cmp_gt_i32_e32 vcc, 1, v0
	s_cbranch_vccnz .LBB5_13
; %bb.6:
	s_mov_b32 s63, 0
	s_mov_b64 s[64:65], src_shared_base
	v_mov_b32_e32 v42, 6
	s_branch .LBB5_8
.LBB5_7:                                ;   in Loop: Header=BB5_8 Depth=1
	s_or_b64 exec, exec, s[66:67]
	s_trap 2
	ds_read_b32 v0, v0
	s_add_i32 s63, s63, 1
	s_waitcnt lgkmcnt(0)
	v_cmp_lt_i32_e32 vcc, s63, v0
	s_cbranch_vccz .LBB5_13
.LBB5_8:                                ; =>This Inner Loop Header: Depth=1
	s_trap 2
	ds_read_b32 v0, v0
	s_cmp_eq_u32 s63, 0
	s_cbranch_scc1 .LBB5_11
; %bb.9:                                ;   in Loop: Header=BB5_8 Depth=1
	s_trap 2
	s_waitcnt lgkmcnt(0)
	ds_read_b32 v1, v0
	s_waitcnt lgkmcnt(0)
	v_xor_b32_e32 v1, v1, v0
	v_and_b32_e32 v1, 0xff0000, v1
	v_cmp_eq_u32_e32 vcc, 0, v1
	s_cbranch_vccnz .LBB5_11
; %bb.10:                               ;   in Loop: Header=BB5_8 Depth=1
	s_barrier
	ds_read_b32 v0, v0
.LBB5_11:                               ;   in Loop: Header=BB5_8 Depth=1
	s_waitcnt lgkmcnt(0)
	v_lshlrev_b32_sdwa v1, v42, v0 dst_sel:DWORD dst_unused:UNUSED_PAD src0_sel:DWORD src1_sel:BYTE_2
	v_cmp_lt_u32_e32 vcc, v41, v1
	s_and_saveexec_b64 s[66:67], vcc
	s_cbranch_execz .LBB5_7
; %bb.12:                               ;   in Loop: Header=BB5_8 Depth=1
	s_mov_b64 s[8:9], s[60:61]
	s_mov_b32 s12, s62
	v_mov_b32_e32 v31, v40
	v_mov_b32_e32 v0, v41
	;; [unrolled: 1-line block ×3, first 2 shown]
	s_getpc_b64 s[0:1]
	s_add_u32 s0, s0, _ZN12_GLOBAL__N_17runRingI6__half10FuncMinMaxIS1_E7ProtoLLLi0ELi4ELi0EEEviiP15ncclDevWorkColl@rel32@lo+4
	s_addc_u32 s1, s1, _ZN12_GLOBAL__N_17runRingI6__half10FuncMinMaxIS1_E7ProtoLLLi0ELi4ELi0EEEviiP15ncclDevWorkColl@rel32@hi+12
	s_swappc_b64 s[30:31], s[0:1]
	s_branch .LBB5_7
.LBB5_13:
	scratch_load_dword v63, off, s33        ; 4-byte Folded Reload
	scratch_load_dword v42, off, s33 offset:4 ; 4-byte Folded Reload
	scratch_load_dword v41, off, s33 offset:8 ; 4-byte Folded Reload
	;; [unrolled: 1-line block ×3, first 2 shown]
	v_readlane_b32 s30, v43, 34
	v_readlane_b32 s31, v43, 35
	;; [unrolled: 1-line block ×37, first 2 shown]
	s_or_saveexec_b64 s[2:3], -1
	scratch_load_dword v43, off, s33 offset:16 ; 4-byte Folded Reload
	s_mov_b64 exec, s[2:3]
	s_addk_i32 s32, 0xffe0
	s_mov_b32 s33, s0
	s_waitcnt vmcnt(0)
	s_setpc_b64 s[30:31]
.Lfunc_end5:
	.size	_Z50ncclDevFunc_ReduceScatter_RING_LL_MinMax_f16_0_0_4v, .Lfunc_end5-_Z50ncclDevFunc_ReduceScatter_RING_LL_MinMax_f16_0_0_4v
                                        ; -- End function
	.section	.AMDGPU.csdata,"",@progbits
; Function info:
; codeLenInByte = 1188
; NumSgprs: 74
; NumVgprs: 64
; NumAgprs: 44
; TotalNumVgprs: 108
; ScratchSize: 144
; MemoryBound: 0
	.text
	.p2alignl 6, 3212836864
	.fill 256, 4, 3212836864
	.type	__hip_cuid_277e82e9fad60c58,@object ; @__hip_cuid_277e82e9fad60c58
	.section	.bss,"aw",@nobits
	.globl	__hip_cuid_277e82e9fad60c58
__hip_cuid_277e82e9fad60c58:
	.byte	0                               ; 0x0
	.size	__hip_cuid_277e82e9fad60c58, 1

	.ident	"AMD clang version 19.0.0git (https://github.com/RadeonOpenCompute/llvm-project roc-6.4.0 25133 c7fe45cf4b819c5991fe208aaa96edf142730f1d)"
	.section	".note.GNU-stack","",@progbits
	.addrsig
	.addrsig_sym _Z50ncclDevFunc_ReduceScatter_RING_LL_MinMax_f16_0_0_1v
	.addrsig_sym _Z50ncclDevFunc_ReduceScatter_RING_LL_MinMax_f16_0_0_2v
	.addrsig_sym _Z50ncclDevFunc_ReduceScatter_RING_LL_MinMax_f16_0_0_4v
	.addrsig_sym ncclShmem
	.addrsig_sym __hip_cuid_277e82e9fad60c58
	.amdgpu_metadata
---
amdhsa.kernels:  []
amdhsa.target:   amdgcn-amd-amdhsa--gfx942
amdhsa.version:
  - 1
  - 2
...

	.end_amdgpu_metadata
